;; amdgpu-corpus repo=ROCm/rocFFT kind=compiled arch=gfx1201 opt=O3
	.text
	.amdgcn_target "amdgcn-amd-amdhsa--gfx1201"
	.amdhsa_code_object_version 6
	.protected	fft_rtc_back_len480_factors_10_8_6_wgs_64_tpt_16_halfLds_half_op_CI_CI_unitstride_sbrr_R2C_dirReg ; -- Begin function fft_rtc_back_len480_factors_10_8_6_wgs_64_tpt_16_halfLds_half_op_CI_CI_unitstride_sbrr_R2C_dirReg
	.globl	fft_rtc_back_len480_factors_10_8_6_wgs_64_tpt_16_halfLds_half_op_CI_CI_unitstride_sbrr_R2C_dirReg
	.p2align	8
	.type	fft_rtc_back_len480_factors_10_8_6_wgs_64_tpt_16_halfLds_half_op_CI_CI_unitstride_sbrr_R2C_dirReg,@function
fft_rtc_back_len480_factors_10_8_6_wgs_64_tpt_16_halfLds_half_op_CI_CI_unitstride_sbrr_R2C_dirReg: ; @fft_rtc_back_len480_factors_10_8_6_wgs_64_tpt_16_halfLds_half_op_CI_CI_unitstride_sbrr_R2C_dirReg
; %bb.0:
	s_clause 0x2
	s_load_b128 s[8:11], s[0:1], 0x0
	s_load_b128 s[4:7], s[0:1], 0x58
	;; [unrolled: 1-line block ×3, first 2 shown]
	v_lshrrev_b32_e32 v7, 4, v0
	v_mov_b32_e32 v3, 0
	v_mov_b32_e32 v1, 0
	;; [unrolled: 1-line block ×3, first 2 shown]
	s_delay_alu instid0(VALU_DEP_4) | instskip(NEXT) | instid1(VALU_DEP_4)
	v_lshl_or_b32 v5, ttmp9, 2, v7
	v_mov_b32_e32 v6, v3
	s_wait_kmcnt 0x0
	v_cmp_lt_u64_e64 s2, s[10:11], 2
	s_delay_alu instid0(VALU_DEP_1)
	s_and_b32 vcc_lo, exec_lo, s2
	s_cbranch_vccnz .LBB0_8
; %bb.1:
	s_load_b64 s[2:3], s[0:1], 0x10
	v_mov_b32_e32 v1, 0
	v_mov_b32_e32 v2, 0
	s_add_nc_u64 s[16:17], s[14:15], 8
	s_add_nc_u64 s[18:19], s[12:13], 8
	s_mov_b64 s[20:21], 1
	s_delay_alu instid0(VALU_DEP_1)
	v_dual_mov_b32 v23, v2 :: v_dual_mov_b32 v22, v1
	s_wait_kmcnt 0x0
	s_add_nc_u64 s[22:23], s[2:3], 8
	s_mov_b32 s3, 0
.LBB0_2:                                ; =>This Inner Loop Header: Depth=1
	s_load_b64 s[24:25], s[22:23], 0x0
                                        ; implicit-def: $vgpr24_vgpr25
	s_mov_b32 s2, exec_lo
	s_wait_kmcnt 0x0
	v_or_b32_e32 v4, s25, v6
	s_delay_alu instid0(VALU_DEP_1)
	v_cmpx_ne_u64_e32 0, v[3:4]
	s_wait_alu 0xfffe
	s_xor_b32 s26, exec_lo, s2
	s_cbranch_execz .LBB0_4
; %bb.3:                                ;   in Loop: Header=BB0_2 Depth=1
	s_cvt_f32_u32 s2, s24
	s_cvt_f32_u32 s27, s25
	s_sub_nc_u64 s[30:31], 0, s[24:25]
	s_wait_alu 0xfffe
	s_delay_alu instid0(SALU_CYCLE_1) | instskip(SKIP_1) | instid1(SALU_CYCLE_2)
	s_fmamk_f32 s2, s27, 0x4f800000, s2
	s_wait_alu 0xfffe
	v_s_rcp_f32 s2, s2
	s_delay_alu instid0(TRANS32_DEP_1) | instskip(SKIP_1) | instid1(SALU_CYCLE_2)
	s_mul_f32 s2, s2, 0x5f7ffffc
	s_wait_alu 0xfffe
	s_mul_f32 s27, s2, 0x2f800000
	s_wait_alu 0xfffe
	s_delay_alu instid0(SALU_CYCLE_2) | instskip(SKIP_1) | instid1(SALU_CYCLE_2)
	s_trunc_f32 s27, s27
	s_wait_alu 0xfffe
	s_fmamk_f32 s2, s27, 0xcf800000, s2
	s_cvt_u32_f32 s29, s27
	s_wait_alu 0xfffe
	s_delay_alu instid0(SALU_CYCLE_1) | instskip(SKIP_1) | instid1(SALU_CYCLE_2)
	s_cvt_u32_f32 s28, s2
	s_wait_alu 0xfffe
	s_mul_u64 s[34:35], s[30:31], s[28:29]
	s_wait_alu 0xfffe
	s_mul_hi_u32 s37, s28, s35
	s_mul_i32 s36, s28, s35
	s_mul_hi_u32 s2, s28, s34
	s_mul_i32 s33, s29, s34
	s_wait_alu 0xfffe
	s_add_nc_u64 s[36:37], s[2:3], s[36:37]
	s_mul_hi_u32 s27, s29, s34
	s_mul_hi_u32 s38, s29, s35
	s_add_co_u32 s2, s36, s33
	s_wait_alu 0xfffe
	s_add_co_ci_u32 s2, s37, s27
	s_mul_i32 s34, s29, s35
	s_add_co_ci_u32 s35, s38, 0
	s_wait_alu 0xfffe
	s_add_nc_u64 s[34:35], s[2:3], s[34:35]
	s_wait_alu 0xfffe
	v_add_co_u32 v4, s2, s28, s34
	s_delay_alu instid0(VALU_DEP_1) | instskip(SKIP_1) | instid1(VALU_DEP_1)
	s_cmp_lg_u32 s2, 0
	s_add_co_ci_u32 s29, s29, s35
	v_readfirstlane_b32 s28, v4
	s_wait_alu 0xfffe
	s_delay_alu instid0(VALU_DEP_1)
	s_mul_u64 s[30:31], s[30:31], s[28:29]
	s_wait_alu 0xfffe
	s_mul_hi_u32 s35, s28, s31
	s_mul_i32 s34, s28, s31
	s_mul_hi_u32 s2, s28, s30
	s_mul_i32 s33, s29, s30
	s_wait_alu 0xfffe
	s_add_nc_u64 s[34:35], s[2:3], s[34:35]
	s_mul_hi_u32 s27, s29, s30
	s_mul_hi_u32 s28, s29, s31
	s_wait_alu 0xfffe
	s_add_co_u32 s2, s34, s33
	s_add_co_ci_u32 s2, s35, s27
	s_mul_i32 s30, s29, s31
	s_add_co_ci_u32 s31, s28, 0
	s_wait_alu 0xfffe
	s_add_nc_u64 s[30:31], s[2:3], s[30:31]
	s_wait_alu 0xfffe
	v_add_co_u32 v4, s2, v4, s30
	s_delay_alu instid0(VALU_DEP_1) | instskip(SKIP_1) | instid1(VALU_DEP_1)
	s_cmp_lg_u32 s2, 0
	s_add_co_ci_u32 s2, s29, s31
	v_mul_hi_u32 v14, v5, v4
	s_wait_alu 0xfffe
	v_mad_co_u64_u32 v[8:9], null, v5, s2, 0
	v_mad_co_u64_u32 v[10:11], null, v6, v4, 0
	;; [unrolled: 1-line block ×3, first 2 shown]
	s_delay_alu instid0(VALU_DEP_3) | instskip(SKIP_1) | instid1(VALU_DEP_4)
	v_add_co_u32 v4, vcc_lo, v14, v8
	s_wait_alu 0xfffd
	v_add_co_ci_u32_e32 v8, vcc_lo, 0, v9, vcc_lo
	s_delay_alu instid0(VALU_DEP_2) | instskip(SKIP_1) | instid1(VALU_DEP_2)
	v_add_co_u32 v4, vcc_lo, v4, v10
	s_wait_alu 0xfffd
	v_add_co_ci_u32_e32 v4, vcc_lo, v8, v11, vcc_lo
	s_wait_alu 0xfffd
	v_add_co_ci_u32_e32 v8, vcc_lo, 0, v13, vcc_lo
	s_delay_alu instid0(VALU_DEP_2) | instskip(SKIP_1) | instid1(VALU_DEP_2)
	v_add_co_u32 v4, vcc_lo, v4, v12
	s_wait_alu 0xfffd
	v_add_co_ci_u32_e32 v10, vcc_lo, 0, v8, vcc_lo
	s_delay_alu instid0(VALU_DEP_2) | instskip(SKIP_1) | instid1(VALU_DEP_3)
	v_mul_lo_u32 v11, s25, v4
	v_mad_co_u64_u32 v[8:9], null, s24, v4, 0
	v_mul_lo_u32 v12, s24, v10
	s_delay_alu instid0(VALU_DEP_2) | instskip(NEXT) | instid1(VALU_DEP_2)
	v_sub_co_u32 v8, vcc_lo, v5, v8
	v_add3_u32 v9, v9, v12, v11
	s_delay_alu instid0(VALU_DEP_1) | instskip(SKIP_1) | instid1(VALU_DEP_1)
	v_sub_nc_u32_e32 v11, v6, v9
	s_wait_alu 0xfffd
	v_subrev_co_ci_u32_e64 v11, s2, s25, v11, vcc_lo
	v_add_co_u32 v12, s2, v4, 2
	s_wait_alu 0xf1ff
	v_add_co_ci_u32_e64 v13, s2, 0, v10, s2
	v_sub_co_u32 v14, s2, v8, s24
	v_sub_co_ci_u32_e32 v9, vcc_lo, v6, v9, vcc_lo
	s_wait_alu 0xf1ff
	v_subrev_co_ci_u32_e64 v11, s2, 0, v11, s2
	s_delay_alu instid0(VALU_DEP_3) | instskip(NEXT) | instid1(VALU_DEP_3)
	v_cmp_le_u32_e32 vcc_lo, s24, v14
	v_cmp_eq_u32_e64 s2, s25, v9
	s_wait_alu 0xfffd
	v_cndmask_b32_e64 v14, 0, -1, vcc_lo
	v_cmp_le_u32_e32 vcc_lo, s25, v11
	s_wait_alu 0xfffd
	v_cndmask_b32_e64 v15, 0, -1, vcc_lo
	v_cmp_le_u32_e32 vcc_lo, s24, v8
	;; [unrolled: 3-line block ×3, first 2 shown]
	s_wait_alu 0xfffd
	v_cndmask_b32_e64 v16, 0, -1, vcc_lo
	v_cmp_eq_u32_e32 vcc_lo, s25, v11
	s_wait_alu 0xf1ff
	s_delay_alu instid0(VALU_DEP_2)
	v_cndmask_b32_e64 v8, v16, v8, s2
	s_wait_alu 0xfffd
	v_cndmask_b32_e32 v11, v15, v14, vcc_lo
	v_add_co_u32 v14, vcc_lo, v4, 1
	s_wait_alu 0xfffd
	v_add_co_ci_u32_e32 v15, vcc_lo, 0, v10, vcc_lo
	s_delay_alu instid0(VALU_DEP_3) | instskip(SKIP_2) | instid1(VALU_DEP_3)
	v_cmp_ne_u32_e32 vcc_lo, 0, v11
	s_wait_alu 0xfffd
	v_cndmask_b32_e32 v11, v14, v12, vcc_lo
	v_cndmask_b32_e32 v9, v15, v13, vcc_lo
	v_cmp_ne_u32_e32 vcc_lo, 0, v8
	s_wait_alu 0xfffd
	s_delay_alu instid0(VALU_DEP_2)
	v_dual_cndmask_b32 v24, v4, v11 :: v_dual_cndmask_b32 v25, v10, v9
.LBB0_4:                                ;   in Loop: Header=BB0_2 Depth=1
	s_wait_alu 0xfffe
	s_and_not1_saveexec_b32 s2, s26
	s_cbranch_execz .LBB0_6
; %bb.5:                                ;   in Loop: Header=BB0_2 Depth=1
	v_cvt_f32_u32_e32 v4, s24
	s_sub_co_i32 s26, 0, s24
	v_mov_b32_e32 v25, v3
	s_delay_alu instid0(VALU_DEP_2) | instskip(NEXT) | instid1(TRANS32_DEP_1)
	v_rcp_iflag_f32_e32 v4, v4
	v_mul_f32_e32 v4, 0x4f7ffffe, v4
	s_delay_alu instid0(VALU_DEP_1) | instskip(SKIP_1) | instid1(VALU_DEP_1)
	v_cvt_u32_f32_e32 v4, v4
	s_wait_alu 0xfffe
	v_mul_lo_u32 v8, s26, v4
	s_delay_alu instid0(VALU_DEP_1) | instskip(NEXT) | instid1(VALU_DEP_1)
	v_mul_hi_u32 v8, v4, v8
	v_add_nc_u32_e32 v4, v4, v8
	s_delay_alu instid0(VALU_DEP_1) | instskip(NEXT) | instid1(VALU_DEP_1)
	v_mul_hi_u32 v4, v5, v4
	v_mul_lo_u32 v8, v4, s24
	s_delay_alu instid0(VALU_DEP_1) | instskip(NEXT) | instid1(VALU_DEP_1)
	v_sub_nc_u32_e32 v8, v5, v8
	v_subrev_nc_u32_e32 v10, s24, v8
	v_cmp_le_u32_e32 vcc_lo, s24, v8
	s_wait_alu 0xfffd
	s_delay_alu instid0(VALU_DEP_2) | instskip(NEXT) | instid1(VALU_DEP_1)
	v_dual_cndmask_b32 v8, v8, v10 :: v_dual_add_nc_u32 v9, 1, v4
	v_cndmask_b32_e32 v4, v4, v9, vcc_lo
	s_delay_alu instid0(VALU_DEP_2) | instskip(NEXT) | instid1(VALU_DEP_2)
	v_cmp_le_u32_e32 vcc_lo, s24, v8
	v_add_nc_u32_e32 v9, 1, v4
	s_wait_alu 0xfffd
	s_delay_alu instid0(VALU_DEP_1)
	v_cndmask_b32_e32 v24, v4, v9, vcc_lo
.LBB0_6:                                ;   in Loop: Header=BB0_2 Depth=1
	s_wait_alu 0xfffe
	s_or_b32 exec_lo, exec_lo, s2
	v_mul_lo_u32 v4, v25, s24
	s_delay_alu instid0(VALU_DEP_2)
	v_mul_lo_u32 v10, v24, s25
	s_load_b64 s[26:27], s[18:19], 0x0
	v_mad_co_u64_u32 v[8:9], null, v24, s24, 0
	s_load_b64 s[24:25], s[16:17], 0x0
	s_add_nc_u64 s[20:21], s[20:21], 1
	s_add_nc_u64 s[16:17], s[16:17], 8
	s_wait_alu 0xfffe
	v_cmp_ge_u64_e64 s2, s[20:21], s[10:11]
	s_add_nc_u64 s[18:19], s[18:19], 8
	s_add_nc_u64 s[22:23], s[22:23], 8
	v_add3_u32 v4, v9, v10, v4
	v_sub_co_u32 v5, vcc_lo, v5, v8
	s_wait_alu 0xfffd
	s_delay_alu instid0(VALU_DEP_2) | instskip(SKIP_2) | instid1(VALU_DEP_1)
	v_sub_co_ci_u32_e32 v4, vcc_lo, v6, v4, vcc_lo
	s_and_b32 vcc_lo, exec_lo, s2
	s_wait_kmcnt 0x0
	v_mul_lo_u32 v6, s26, v4
	v_mul_lo_u32 v8, s27, v5
	v_mad_co_u64_u32 v[1:2], null, s26, v5, v[1:2]
	v_mul_lo_u32 v4, s24, v4
	v_mul_lo_u32 v9, s25, v5
	v_mad_co_u64_u32 v[22:23], null, s24, v5, v[22:23]
	s_delay_alu instid0(VALU_DEP_4) | instskip(NEXT) | instid1(VALU_DEP_2)
	v_add3_u32 v2, v8, v2, v6
	v_add3_u32 v23, v9, v23, v4
	s_wait_alu 0xfffe
	s_cbranch_vccnz .LBB0_9
; %bb.7:                                ;   in Loop: Header=BB0_2 Depth=1
	v_dual_mov_b32 v5, v24 :: v_dual_mov_b32 v6, v25
	s_branch .LBB0_2
.LBB0_8:
	v_dual_mov_b32 v23, v2 :: v_dual_mov_b32 v22, v1
	v_dual_mov_b32 v25, v6 :: v_dual_mov_b32 v24, v5
.LBB0_9:
	s_load_b64 s[0:1], s[0:1], 0x28
	v_and_b32_e32 v18, 15, v0
	s_lshl_b64 s[10:11], s[10:11], 3
                                        ; implicit-def: $vgpr26
                                        ; implicit-def: $vgpr20
                                        ; implicit-def: $vgpr28
                                        ; implicit-def: $vgpr19
	s_wait_kmcnt 0x0
	v_cmp_gt_u64_e32 vcc_lo, s[0:1], v[24:25]
	v_cmp_le_u64_e64 s0, s[0:1], v[24:25]
	s_delay_alu instid0(VALU_DEP_1)
	s_and_saveexec_b32 s1, s0
	s_wait_alu 0xfffe
	s_xor_b32 s0, exec_lo, s1
; %bb.10:
	v_and_b32_e32 v26, 15, v0
                                        ; implicit-def: $vgpr1_vgpr2
                                        ; implicit-def: $vgpr18
	s_delay_alu instid0(VALU_DEP_1)
	v_or_b32_e32 v20, 16, v26
	v_or_b32_e32 v28, 32, v26
	v_or_b32_e32 v19, 48, v26
; %bb.11:
	s_wait_alu 0xfffe
	s_or_saveexec_b32 s1, s0
	v_mul_u32_u24_e32 v0, 0x1e1, v7
	s_add_nc_u64 s[2:3], s[14:15], s[10:11]
	s_delay_alu instid0(VALU_DEP_1)
	v_lshlrev_b32_e32 v59, 2, v0
	s_wait_alu 0xfffe
	s_xor_b32 exec_lo, exec_lo, s1
	s_cbranch_execz .LBB0_13
; %bb.12:
	s_add_nc_u64 s[10:11], s[12:13], s[10:11]
	v_or_b32_e32 v20, 16, v18
	s_load_b64 s[10:11], s[10:11], 0x0
	v_or_b32_e32 v28, 32, v18
	v_or_b32_e32 v19, 48, v18
	v_mov_b32_e32 v26, v18
	s_wait_kmcnt 0x0
	v_mul_lo_u32 v0, s11, v24
	v_mul_lo_u32 v5, s10, v25
	v_mad_co_u64_u32 v[3:4], null, s10, v24, 0
	s_delay_alu instid0(VALU_DEP_1) | instskip(SKIP_1) | instid1(VALU_DEP_2)
	v_add3_u32 v4, v4, v5, v0
	v_lshlrev_b64_e32 v[0:1], 2, v[1:2]
	v_lshlrev_b64_e32 v[3:4], 2, v[3:4]
	s_delay_alu instid0(VALU_DEP_1) | instskip(SKIP_1) | instid1(VALU_DEP_2)
	v_add_co_u32 v2, s0, s4, v3
	s_wait_alu 0xf1ff
	v_add_co_ci_u32_e64 v3, s0, s5, v4, s0
	v_lshlrev_b32_e32 v4, 2, v18
	s_delay_alu instid0(VALU_DEP_3) | instskip(SKIP_1) | instid1(VALU_DEP_3)
	v_add_co_u32 v0, s0, v2, v0
	s_wait_alu 0xf1ff
	v_add_co_ci_u32_e64 v1, s0, v3, v1, s0
	s_delay_alu instid0(VALU_DEP_2) | instskip(SKIP_1) | instid1(VALU_DEP_2)
	v_add_co_u32 v0, s0, v0, v4
	s_wait_alu 0xf1ff
	v_add_co_ci_u32_e64 v1, s0, 0, v1, s0
	s_clause 0x1d
	global_load_b32 v2, v[0:1], off
	global_load_b32 v3, v[0:1], off offset:64
	global_load_b32 v5, v[0:1], off offset:128
	;; [unrolled: 1-line block ×29, first 2 shown]
	v_add3_u32 v1, 0, v59, v4
	s_delay_alu instid0(VALU_DEP_1)
	v_add_nc_u32_e32 v4, 0x400, v1
	s_wait_loadcnt 0x1c
	ds_store_2addr_b32 v1, v2, v3 offset1:16
	s_wait_loadcnt 0x1a
	ds_store_2addr_b32 v1, v5, v6 offset0:32 offset1:48
	s_wait_loadcnt 0x18
	ds_store_2addr_b32 v1, v7, v8 offset0:64 offset1:80
	;; [unrolled: 2-line block ×7, first 2 shown]
	s_wait_loadcnt 0xc
	ds_store_2addr_b32 v4, v27, v29 offset1:16
	s_wait_loadcnt 0xa
	ds_store_2addr_b32 v4, v30, v31 offset0:32 offset1:48
	s_wait_loadcnt 0x8
	ds_store_2addr_b32 v4, v32, v33 offset0:64 offset1:80
	;; [unrolled: 2-line block ×6, first 2 shown]
.LBB0_13:
	s_or_b32 exec_lo, exec_lo, s1
	v_lshlrev_b32_e32 v21, 2, v26
	s_load_b64 s[2:3], s[2:3], 0x0
	global_wb scope:SCOPE_SE
	s_wait_dscnt 0x0
	s_wait_kmcnt 0x0
	s_barrier_signal -1
	s_barrier_wait -1
	v_add_nc_u32_e32 v0, 0, v21
	global_inv scope:SCOPE_SE
	v_add_nc_u32_e32 v57, 0, v59
	v_cmp_gt_u32_e64 s0, 12, v26
	v_add_nc_u32_e32 v27, v0, v59
	ds_load_2addr_b32 v[14:15], v27 offset0:112 offset1:128
	ds_load_2addr_b32 v[12:13], v27 offset0:208 offset1:224
	v_add_nc_u32_e32 v34, 0x400, v27
	v_add_nc_u32_e32 v58, v57, v21
	ds_load_2addr_b32 v[16:17], v27 offset0:16 offset1:32
	ds_load_2addr_b32 v[10:11], v34 offset0:48 offset1:64
	;; [unrolled: 1-line block ×7, first 2 shown]
	ds_load_b32 v46, v58
	s_wait_dscnt 0x9
	v_lshrrev_b32_e32 v29, 16, v15
	s_wait_dscnt 0x8
	v_lshrrev_b32_e32 v30, 16, v13
	v_sub_f16_e32 v31, v15, v13
	v_sub_f16_e32 v32, v13, v15
	s_wait_dscnt 0x7
	v_pk_add_f16 v33, v17, v15
	s_wait_dscnt 0x6
	v_lshrrev_b32_e32 v38, 16, v11
	v_lshrrev_b32_e32 v35, 16, v17
	v_add_f16_e32 v36, v13, v11
	s_wait_dscnt 0x5
	v_lshrrev_b32_e32 v37, 16, v9
	v_pk_add_f16 v33, v33, v13
	v_sub_f16_e32 v39, v9, v11
	v_add_f16_e32 v40, v15, v9
	v_sub_f16_e32 v41, v11, v9
	v_sub_f16_e32 v13, v13, v11
	v_pk_add_f16 v11, v33, v11
	v_add_f16_e32 v33, v30, v38
	v_fma_f16 v36, -0.5, v36, v17
	v_sub_f16_e32 v43, v29, v37
	v_sub_f16_e32 v44, v30, v38
	v_fma_f16 v17, -0.5, v40, v17
	v_fma_f16 v45, -0.5, v33, v35
	ds_load_b32 v33, v27 offset:1856
	v_sub_f16_e32 v15, v15, v9
	v_add_f16_e32 v32, v32, v41
	v_fmamk_f16 v40, v43, 0xbb9c, v36
	v_fmac_f16_e32 v36, 0x3b9c, v43
	v_fmamk_f16 v41, v44, 0x3b9c, v17
	v_fmac_f16_e32 v17, 0xbb9c, v44
	v_sub_f16_e32 v42, v29, v30
	v_add_f16_e32 v31, v31, v39
	v_sub_f16_e32 v39, v37, v38
	v_fmac_f16_e32 v40, 0xb8b4, v44
	v_fmac_f16_e32 v36, 0x38b4, v44
	;; [unrolled: 1-line block ×4, first 2 shown]
	v_fmamk_f16 v43, v15, 0x3b9c, v45
	v_fmac_f16_e32 v45, 0xbb9c, v15
	v_fmac_f16_e32 v40, 0x34f2, v31
	;; [unrolled: 1-line block ×3, first 2 shown]
	v_add_f16_e32 v31, v42, v39
	v_fmac_f16_e32 v43, 0x38b4, v13
	v_fmac_f16_e32 v45, 0xb8b4, v13
	;; [unrolled: 1-line block ×3, first 2 shown]
	v_add_f16_e32 v39, v29, v37
	v_fmac_f16_e32 v17, 0x34f2, v32
	v_pk_add_f16 v9, v11, v9
	v_fmac_f16_e32 v43, 0x34f2, v31
	v_fmac_f16_e32 v45, 0x34f2, v31
	s_wait_dscnt 0x2
	v_add_f16_e32 v11, v2, v0
	v_lshrrev_b32_e32 v31, 16, v4
	s_wait_dscnt 0x0
	v_lshrrev_b32_e32 v32, 16, v33
	v_fmac_f16_e32 v35, -0.5, v39
	v_sub_f16_e32 v29, v30, v29
	v_sub_f16_e32 v30, v38, v37
	v_fma_f16 v11, -0.5, v11, v6
	v_sub_f16_e32 v37, v31, v32
	v_lshrrev_b32_e32 v38, 16, v2
	v_lshrrev_b32_e32 v42, 16, v0
	v_fmamk_f16 v39, v13, 0xbb9c, v35
	v_add_f16_e32 v29, v29, v30
	v_fmac_f16_e32 v35, 0x3b9c, v13
	v_fmamk_f16 v13, v37, 0xbb9c, v11
	v_sub_f16_e32 v30, v38, v42
	v_sub_f16_e32 v44, v33, v0
	;; [unrolled: 1-line block ×3, first 2 shown]
	v_add_f16_e32 v48, v4, v33
	v_fmac_f16_e32 v11, 0x3b9c, v37
	v_fmac_f16_e32 v39, 0x38b4, v15
	;; [unrolled: 1-line block ×4, first 2 shown]
	v_add_f16_e32 v15, v47, v44
	v_fma_f16 v44, -0.5, v48, v6
	v_fmac_f16_e32 v11, 0x38b4, v30
	v_fmac_f16_e32 v39, 0x34f2, v29
	;; [unrolled: 1-line block ×4, first 2 shown]
	v_fmamk_f16 v29, v30, 0x3b9c, v44
	v_sub_f16_e32 v47, v0, v33
	v_sub_f16_e32 v48, v2, v4
	v_fmac_f16_e32 v11, 0x34f2, v15
	v_add_f16_e32 v15, v38, v42
	v_lshrrev_b32_e32 v49, 16, v6
	v_fmac_f16_e32 v44, 0xbb9c, v30
	v_add_f16_e32 v30, v31, v32
	v_add_f16_e32 v47, v48, v47
	v_sub_f16_e32 v48, v4, v33
	v_fma_f16 v15, -0.5, v15, v49
	v_sub_f16_e32 v50, v2, v0
	v_fmac_f16_e32 v49, -0.5, v30
	v_fmac_f16_e32 v29, 0xb8b4, v37
	v_fmac_f16_e32 v44, 0x38b4, v37
	v_fmamk_f16 v30, v48, 0x3b9c, v15
	v_sub_f16_e32 v37, v31, v38
	v_sub_f16_e32 v51, v32, v42
	v_fmamk_f16 v52, v50, 0xbb9c, v49
	v_sub_f16_e32 v31, v38, v31
	v_sub_f16_e32 v32, v42, v32
	v_pk_add_f16 v4, v6, v4
	v_fmac_f16_e32 v15, 0xbb9c, v48
	v_fmac_f16_e32 v49, 0x3b9c, v50
	;; [unrolled: 1-line block ×3, first 2 shown]
	v_add_f16_e32 v37, v37, v51
	v_fmac_f16_e32 v52, 0x38b4, v48
	v_add_f16_e32 v31, v31, v32
	v_pk_add_f16 v2, v4, v2
	v_fmac_f16_e32 v15, 0xb8b4, v50
	v_fmac_f16_e32 v49, 0xb8b4, v48
	;; [unrolled: 1-line block ×4, first 2 shown]
	v_pk_add_f16 v0, v2, v0
	v_fmac_f16_e32 v15, 0x34f2, v37
	v_fmac_f16_e32 v29, 0x34f2, v47
	;; [unrolled: 1-line block ×3, first 2 shown]
	v_mul_f16_e32 v4, 0xb8b4, v30
	v_mul_f16_e32 v6, 0xbb9c, v52
	v_pk_add_f16 v2, v0, v33
	v_mul_f16_e32 v0, 0xb8b4, v15
	v_fmac_f16_e32 v44, 0x34f2, v47
	v_mul_f16_e32 v32, 0xbb9c, v49
	v_fmac_f16_e32 v4, 0x3a79, v13
	v_fmac_f16_e32 v6, 0x34f2, v29
	v_mul_f16_e32 v13, 0x38b4, v13
	v_mul_f16_e32 v37, 0x34f2, v52
	;; [unrolled: 1-line block ×3, first 2 shown]
	v_fmac_f16_e32 v0, 0xba79, v11
	v_fmac_f16_e32 v32, 0xb4f2, v44
	v_add_f16_e32 v47, v40, v4
	v_add_f16_e32 v48, v41, v6
	v_mul_f16_e32 v38, 0xb4f2, v49
	v_fmac_f16_e32 v13, 0x3a79, v30
	v_fmac_f16_e32 v37, 0x3b9c, v29
	;; [unrolled: 1-line block ×3, first 2 shown]
	v_add_f16_e32 v62, v36, v0
	v_sub_f16_e32 v30, v40, v4
	v_sub_f16_e32 v31, v41, v6
	;; [unrolled: 1-line block ×3, first 2 shown]
	v_add_f16_e32 v0, v12, v10
	v_lshrrev_b32_e32 v4, 16, v14
	v_lshrrev_b32_e32 v6, 16, v8
	v_add_f16_e32 v50, v17, v32
	v_fmac_f16_e32 v38, 0x3b9c, v44
	v_add_f16_e32 v49, v39, v37
	v_add_f16_e32 v63, v45, v15
	v_sub_f16_e32 v32, v17, v32
	v_sub_f16_e32 v64, v39, v37
	;; [unrolled: 1-line block ×3, first 2 shown]
	v_fma_f16 v17, -0.5, v0, v16
	v_sub_f16_e32 v45, v4, v6
	v_lshrrev_b32_e32 v52, 16, v12
	v_lshrrev_b32_e32 v53, 16, v10
	v_sub_f16_e32 v39, v8, v10
	v_sub_f16_e32 v40, v14, v12
	v_add_nc_u32_e32 v0, 0x200, v27
	v_add_f16_e32 v41, v14, v8
	v_add_f16_e32 v11, v43, v13
	;; [unrolled: 1-line block ×3, first 2 shown]
	v_sub_f16_e32 v66, v43, v13
	v_sub_f16_e32 v65, v35, v38
	ds_load_2addr_b32 v[35:36], v27 offset0:48 offset1:64
	v_fmamk_f16 v54, v45, 0xbb9c, v17
	v_sub_f16_e32 v55, v52, v53
	ds_load_2addr_b32 v[37:38], v27 offset0:144 offset1:160
	v_add_f16_e32 v56, v40, v39
	ds_load_2addr_b32 v[39:40], v0 offset0:112 offset1:128
	v_fma_f16 v60, -0.5, v41, v16
	ds_load_2addr_b32 v[41:42], v34 offset0:80 offset1:96
	ds_load_2addr_b32 v[43:44], v34 offset0:176 offset1:192
	v_fmac_f16_e32 v17, 0x3b9c, v45
	v_sub_f16_e32 v68, v10, v8
	v_sub_f16_e32 v69, v12, v14
	v_add_f16_e32 v70, v52, v53
	v_lshrrev_b32_e32 v71, 16, v16
	v_fmac_f16_e32 v54, 0xb8b4, v55
	v_fmamk_f16 v61, v55, 0x3b9c, v60
	v_fmac_f16_e32 v17, 0x38b4, v55
	v_add_f16_e32 v68, v69, v68
	v_pk_add_f16 v16, v16, v14
	v_fma_f16 v69, -0.5, v70, v71
	v_sub_f16_e32 v14, v14, v8
	v_fmac_f16_e32 v60, 0xbb9c, v55
	v_fmac_f16_e32 v54, 0x34f2, v56
	;; [unrolled: 1-line block ×4, first 2 shown]
	v_pk_add_f16 v16, v16, v12
	v_fmamk_f16 v55, v14, 0x3b9c, v69
	v_sub_f16_e32 v12, v12, v10
	v_sub_f16_e32 v56, v4, v52
	;; [unrolled: 1-line block ×3, first 2 shown]
	v_fmac_f16_e32 v60, 0x38b4, v45
	v_fmac_f16_e32 v69, 0xbb9c, v14
	v_add_f16_e32 v45, v4, v6
	v_pk_add_f16 v10, v16, v10
	v_fmac_f16_e32 v55, 0x38b4, v12
	v_add_f16_e32 v16, v56, v70
	v_fmac_f16_e32 v69, 0xb8b4, v12
	v_fmac_f16_e32 v71, -0.5, v45
	v_pk_add_f16 v8, v10, v8
	s_wait_dscnt 0x1
	v_add_f16_e32 v10, v40, v42
	v_fmac_f16_e32 v55, 0x34f2, v16
	v_fmac_f16_e32 v69, 0x34f2, v16
	v_lshrrev_b32_e32 v16, 16, v38
	s_wait_dscnt 0x0
	v_lshrrev_b32_e32 v45, 16, v44
	v_fmamk_f16 v56, v12, 0xbb9c, v71
	v_sub_f16_e32 v4, v52, v4
	v_sub_f16_e32 v6, v53, v6
	v_fmac_f16_e32 v71, 0x3b9c, v12
	v_fmac_f16_e32 v61, 0x34f2, v68
	;; [unrolled: 1-line block ×3, first 2 shown]
	v_fma_f16 v10, -0.5, v10, v36
	v_sub_f16_e32 v52, v16, v45
	v_lshrrev_b32_e32 v53, 16, v40
	v_lshrrev_b32_e32 v68, 16, v42
	v_fmac_f16_e32 v56, 0x38b4, v14
	v_add_f16_e32 v4, v4, v6
	v_fmac_f16_e32 v71, 0xb8b4, v14
	v_add_f16_e32 v14, v38, v44
	v_fmamk_f16 v6, v52, 0xbb9c, v10
	v_sub_f16_e32 v12, v53, v68
	v_sub_f16_e32 v70, v44, v42
	;; [unrolled: 1-line block ×3, first 2 shown]
	v_fmac_f16_e32 v10, 0x3b9c, v52
	v_fmac_f16_e32 v56, 0x34f2, v4
	;; [unrolled: 1-line block ×3, first 2 shown]
	v_fma_f16 v4, -0.5, v14, v36
	v_fmac_f16_e32 v6, 0xb8b4, v12
	v_add_f16_e32 v70, v72, v70
	v_fmac_f16_e32 v10, 0x38b4, v12
	v_add_f16_e32 v14, v53, v68
	v_fmamk_f16 v72, v12, 0x3b9c, v4
	v_fmac_f16_e32 v4, 0xbb9c, v12
	v_fmac_f16_e32 v6, 0x34f2, v70
	;; [unrolled: 1-line block ×3, first 2 shown]
	v_lshrrev_b32_e32 v70, 16, v36
	v_sub_f16_e32 v73, v42, v44
	v_sub_f16_e32 v74, v40, v38
	v_fmac_f16_e32 v72, 0xb8b4, v52
	v_fmac_f16_e32 v4, 0x38b4, v52
	v_add_f16_e32 v52, v16, v45
	v_fma_f16 v12, -0.5, v14, v70
	v_sub_f16_e32 v14, v38, v44
	v_add_f16_e32 v73, v74, v73
	v_sub_f16_e32 v75, v40, v42
	v_fmac_f16_e32 v70, -0.5, v52
	v_pk_add_f16 v36, v36, v38
	v_fmamk_f16 v74, v14, 0x3b9c, v12
	v_fmac_f16_e32 v72, 0x34f2, v73
	v_fmac_f16_e32 v4, 0x34f2, v73
	v_sub_f16_e32 v38, v16, v53
	v_sub_f16_e32 v52, v45, v68
	v_fmamk_f16 v73, v75, 0xbb9c, v70
	v_sub_f16_e32 v16, v53, v16
	v_sub_f16_e32 v45, v68, v45
	v_fmac_f16_e32 v70, 0x3b9c, v75
	v_fmac_f16_e32 v12, 0xbb9c, v14
	;; [unrolled: 1-line block ×3, first 2 shown]
	v_add_f16_e32 v38, v38, v52
	v_fmac_f16_e32 v73, 0x38b4, v14
	v_add_f16_e32 v16, v16, v45
	v_fmac_f16_e32 v70, 0xb8b4, v14
	v_fmac_f16_e32 v12, 0xb8b4, v75
	;; [unrolled: 1-line block ×3, first 2 shown]
	v_pk_add_f16 v14, v36, v40
	v_fmac_f16_e32 v73, 0x34f2, v16
	v_fmac_f16_e32 v70, 0x34f2, v16
	;; [unrolled: 1-line block ×3, first 2 shown]
	v_mul_f16_e32 v16, 0xb8b4, v74
	v_pk_add_f16 v14, v14, v42
	v_mul_f16_e32 v36, 0xbb9c, v73
	v_mul_f16_e32 v38, 0xbb9c, v70
	;; [unrolled: 1-line block ×6, first 2 shown]
	v_fmac_f16_e32 v16, 0x3a79, v6
	v_fmac_f16_e32 v36, 0x34f2, v72
	;; [unrolled: 1-line block ×4, first 2 shown]
	v_mul_f16_e32 v6, 0x38b4, v6
	v_fmac_f16_e32 v53, 0x3b9c, v72
	v_fmac_f16_e32 v68, 0x3b9c, v4
	;; [unrolled: 1-line block ×3, first 2 shown]
	v_add_f16_e32 v4, v5, v3
	v_lshrrev_b32_e32 v10, 16, v7
	v_lshrrev_b32_e32 v72, 16, v1
	v_pk_add_f16 v14, v14, v44
	v_add_f16_e32 v44, v61, v36
	v_fmac_f16_e32 v6, 0x3a79, v74
	v_fma_f16 v4, -0.5, v4, v46
	v_sub_f16_e32 v77, v10, v72
	v_lshrrev_b32_e32 v78, 16, v5
	v_lshrrev_b32_e32 v79, 16, v3
	v_sub_f16_e32 v36, v61, v36
	v_sub_f16_e32 v61, v1, v3
	;; [unrolled: 1-line block ×3, first 2 shown]
	v_add_f16_e32 v42, v54, v16
	v_add_f16_e32 v45, v60, v38
	;; [unrolled: 1-line block ×7, first 2 shown]
	v_sub_f16_e32 v16, v54, v16
	v_sub_f16_e32 v38, v60, v38
	v_fmamk_f16 v54, v77, 0xbb9c, v4
	v_sub_f16_e32 v60, v78, v79
	v_sub_f16_e32 v17, v17, v40
	v_add_f16_e32 v40, v7, v1
	v_sub_f16_e32 v6, v55, v6
	v_add_f16_e32 v55, v80, v61
	v_sub_f16_e32 v53, v56, v53
	v_sub_f16_e32 v56, v71, v68
	;; [unrolled: 1-line block ×3, first 2 shown]
	v_fmac_f16_e32 v4, 0x3b9c, v77
	v_sub_f16_e32 v68, v3, v1
	v_sub_f16_e32 v69, v5, v7
	v_add_f16_e32 v71, v78, v79
	v_lshrrev_b32_e32 v80, 16, v46
	v_fmac_f16_e32 v54, 0xb8b4, v60
	v_fma_f16 v40, -0.5, v40, v46
	v_fmac_f16_e32 v4, 0x38b4, v60
	v_add_f16_e32 v68, v69, v68
	v_pk_add_f16 v46, v46, v7
	v_fma_f16 v69, -0.5, v71, v80
	v_sub_f16_e32 v7, v7, v1
	v_fmac_f16_e32 v54, 0x34f2, v55
	v_fmamk_f16 v61, v60, 0x3b9c, v40
	v_fmac_f16_e32 v4, 0x34f2, v55
	v_fmac_f16_e32 v40, 0xbb9c, v60
	v_pk_add_f16 v46, v46, v5
	v_fmamk_f16 v55, v7, 0x3b9c, v69
	v_sub_f16_e32 v5, v5, v3
	v_sub_f16_e32 v60, v10, v78
	;; [unrolled: 1-line block ×3, first 2 shown]
	v_fmac_f16_e32 v69, 0xbb9c, v7
	v_pk_add_f16 v3, v46, v3
	v_fmac_f16_e32 v55, 0x38b4, v5
	v_fmac_f16_e32 v61, 0xb8b4, v77
	v_add_f16_e32 v46, v60, v71
	v_add_f16_e32 v60, v10, v72
	v_fmac_f16_e32 v69, 0xb8b4, v5
	v_pk_add_f16 v1, v3, v1
	v_add_f16_e32 v3, v39, v41
	v_fmac_f16_e32 v55, 0x34f2, v46
	v_fmac_f16_e32 v80, -0.5, v60
	v_fmac_f16_e32 v69, 0x34f2, v46
	v_lshrrev_b32_e32 v46, 16, v37
	v_lshrrev_b32_e32 v60, 16, v43
	v_fmac_f16_e32 v40, 0x38b4, v77
	v_sub_f16_e32 v10, v78, v10
	v_sub_f16_e32 v71, v79, v72
	v_fma_f16 v3, -0.5, v3, v35
	v_sub_f16_e32 v72, v46, v60
	v_lshrrev_b32_e32 v77, 16, v39
	v_lshrrev_b32_e32 v78, 16, v41
	v_fmac_f16_e32 v61, 0x34f2, v68
	v_fmac_f16_e32 v40, 0x34f2, v68
	v_fmamk_f16 v68, v5, 0xbb9c, v80
	v_add_f16_e32 v10, v10, v71
	v_fmac_f16_e32 v80, 0x3b9c, v5
	v_fmamk_f16 v5, v72, 0xbb9c, v3
	v_sub_f16_e32 v71, v77, v78
	v_sub_f16_e32 v79, v43, v41
	;; [unrolled: 1-line block ×3, first 2 shown]
	v_fmac_f16_e32 v3, 0x3b9c, v72
	v_add_f16_e32 v82, v37, v43
	v_fmac_f16_e32 v68, 0x38b4, v7
	v_fmac_f16_e32 v80, 0xb8b4, v7
	;; [unrolled: 1-line block ×3, first 2 shown]
	v_add_f16_e32 v7, v81, v79
	v_fmac_f16_e32 v3, 0x38b4, v71
	v_fma_f16 v79, -0.5, v82, v35
	v_fmac_f16_e32 v68, 0x34f2, v10
	v_fmac_f16_e32 v80, 0x34f2, v10
	;; [unrolled: 1-line block ×4, first 2 shown]
	v_fmamk_f16 v7, v71, 0x3b9c, v79
	v_sub_f16_e32 v10, v41, v43
	v_sub_f16_e32 v81, v39, v37
	v_fmac_f16_e32 v79, 0xbb9c, v71
	v_add_f16_e32 v71, v77, v78
	v_lshrrev_b32_e32 v82, 16, v35
	v_fmac_f16_e32 v7, 0xb8b4, v72
	v_add_f16_e32 v10, v81, v10
	v_fmac_f16_e32 v79, 0x38b4, v72
	v_add_f16_e32 v72, v46, v60
	v_fma_f16 v71, -0.5, v71, v82
	v_sub_f16_e32 v81, v37, v43
	v_fmac_f16_e32 v7, 0x34f2, v10
	v_sub_f16_e32 v83, v39, v41
	v_fmac_f16_e32 v82, -0.5, v72
	v_fmac_f16_e32 v79, 0x34f2, v10
	v_fmamk_f16 v10, v81, 0x3b9c, v71
	v_sub_f16_e32 v72, v46, v77
	v_sub_f16_e32 v84, v60, v78
	v_fmamk_f16 v85, v83, 0xbb9c, v82
	v_sub_f16_e32 v46, v77, v46
	v_fmac_f16_e32 v10, 0x38b4, v83
	v_sub_f16_e32 v60, v78, v60
	v_add_f16_e32 v72, v72, v84
	v_fmac_f16_e32 v82, 0x3b9c, v83
	v_fmac_f16_e32 v71, 0xbb9c, v81
	;; [unrolled: 1-line block ×3, first 2 shown]
	v_add_f16_e32 v46, v46, v60
	v_fmac_f16_e32 v10, 0x34f2, v72
	v_fmac_f16_e32 v82, 0xb8b4, v81
	v_pk_add_f16 v35, v35, v37
	v_fmac_f16_e32 v71, 0xb8b4, v83
	v_fmac_f16_e32 v85, 0x34f2, v46
	v_mul_f16_e32 v37, 0xb8b4, v10
	v_fmac_f16_e32 v82, 0x34f2, v46
	v_pk_add_f16 v35, v35, v39
	v_fmac_f16_e32 v71, 0x34f2, v72
	v_mul_f16_e32 v39, 0xbb9c, v85
	v_fmac_f16_e32 v37, 0x3a79, v5
	v_mul_f16_e32 v5, 0x38b4, v5
	v_mul_f16_e32 v46, 0xbb9c, v82
	;; [unrolled: 1-line block ×4, first 2 shown]
	v_pk_add_f16 v35, v35, v41
	v_mul_f16_e32 v41, 0xb8b4, v71
	v_mul_f16_e32 v71, 0xba79, v71
	v_fmac_f16_e32 v5, 0x3a79, v10
	v_fmac_f16_e32 v39, 0x34f2, v7
	;; [unrolled: 1-line block ×7, first 2 shown]
	v_mul_u32_u24_e32 v13, 10, v26
	v_pk_add_f16 v35, v35, v43
	v_add_f16_e32 v43, v54, v37
	v_add_f16_e32 v7, v55, v5
	;; [unrolled: 1-line block ×8, first 2 shown]
	v_sub_f16_e32 v37, v54, v37
	v_sub_f16_e32 v39, v61, v39
	v_sub_f16_e32 v4, v4, v41
	v_sub_f16_e32 v5, v55, v5
	v_sub_f16_e32 v41, v68, v77
	v_sub_f16_e32 v40, v40, v46
	v_sub_f16_e32 v46, v80, v78
	v_sub_f16_e32 v54, v69, v71
	v_mul_i32_i24_e32 v15, 10, v20
	v_lshl_add_u32 v13, v13, 2, v57
	v_pk_add_f16 v3, v1, v35
	v_pack_b32_f16 v7, v43, v7
	v_pack_b32_f16 v43, v72, v79
	;; [unrolled: 1-line block ×3, first 2 shown]
	v_pk_add_f16 v1, v1, v35 neg_lo:[0,1] neg_hi:[0,1]
	v_pack_b32_f16 v35, v81, v82
	v_pack_b32_f16 v39, v39, v41
	;; [unrolled: 1-line block ×5, first 2 shown]
	v_lshl_add_u32 v15, v15, 2, v57
	v_pk_add_f16 v70, v8, v14
	global_wb scope:SCOPE_SE
	s_barrier_signal -1
	s_barrier_wait -1
	global_inv scope:SCOPE_SE
	ds_store_2addr_b32 v13, v3, v7 offset1:1
	ds_store_2addr_b32 v13, v10, v43 offset0:2 offset1:3
	ds_store_2addr_b32 v13, v35, v1 offset0:4 offset1:5
	;; [unrolled: 1-line block ×4, first 2 shown]
	v_pack_b32_f16 v1, v42, v73
	v_mul_i32_i24_e32 v13, 10, v28
	v_pack_b32_f16 v3, v45, v75
	v_pack_b32_f16 v4, v44, v74
	v_pk_add_f16 v5, v8, v14 neg_lo:[0,1] neg_hi:[0,1]
	v_pack_b32_f16 v7, v52, v76
	v_pack_b32_f16 v8, v36, v53
	;; [unrolled: 1-line block ×5, first 2 shown]
	v_pk_add_f16 v29, v9, v2 neg_lo:[0,1] neg_hi:[0,1]
	ds_store_2addr_b32 v15, v70, v1 offset1:1
	ds_store_2addr_b32 v15, v4, v3 offset0:2 offset1:3
	ds_store_2addr_b32 v15, v7, v5 offset0:4 offset1:5
	ds_store_2addr_b32 v15, v6, v8 offset0:6 offset1:7
	ds_store_2addr_b32 v15, v12, v10 offset0:8 offset1:9
	v_lshl_add_u32 v1, v13, 2, v57
	v_pk_add_f16 v2, v9, v2
	v_pack_b32_f16 v3, v47, v11
	v_pack_b32_f16 v4, v50, v51
	;; [unrolled: 1-line block ×8, first 2 shown]
	ds_store_2addr_b32 v1, v2, v3 offset1:1
	ds_store_2addr_b32 v1, v5, v4 offset0:2 offset1:3
	ds_store_2addr_b32 v1, v6, v29 offset0:4 offset1:5
	;; [unrolled: 1-line block ×4, first 2 shown]
	global_wb scope:SCOPE_SE
	s_wait_dscnt 0x0
	s_barrier_signal -1
	s_barrier_wait -1
	global_inv scope:SCOPE_SE
	ds_load_2addr_b32 v[51:52], v27 offset0:60 offset1:76
	ds_load_2addr_b32 v[41:42], v27 offset0:92 offset1:120
	;; [unrolled: 1-line block ×6, first 2 shown]
	ds_load_b32 v75, v58
	ds_load_u16 v76, v27 offset:1682
	ds_load_2addr_b32 v[49:50], v34 offset0:164 offset1:180
	v_lshl_add_u32 v60, v28, 2, v57
	v_lshl_add_u32 v61, v20, 2, v57
	ds_load_2addr_b32 v[53:54], v27 offset0:136 offset1:152
	ds_load_2addr_b32 v[47:48], v34 offset1:16
	ds_load_2addr_b32 v[43:44], v34 offset0:120 offset1:136
	ds_load_b32 v72, v60
	ds_load_b32 v73, v61
	ds_load_b32 v74, v27 offset:1808
	v_lshlrev_b32_e32 v68, 2, v19
                                        ; implicit-def: $vgpr71
                                        ; implicit-def: $vgpr70
                                        ; implicit-def: $vgpr69
	s_and_saveexec_b32 s1, s0
	s_cbranch_execz .LBB0_15
; %bb.14:
	s_delay_alu instid0(VALU_DEP_1)
	v_add3_u32 v1, 0, v68, v59
	ds_load_2addr_b32 v[29:30], v27 offset0:108 offset1:168
	ds_load_2addr_b32 v[31:32], v0 offset0:100 offset1:160
	;; [unrolled: 1-line block ×3, first 2 shown]
	ds_load_b32 v62, v1
	ds_load_b32 v69, v27 offset:1872
	s_wait_dscnt 0x4
	v_lshrrev_b32_e32 v66, 16, v30
	s_wait_dscnt 0x3
	v_lshrrev_b32_e32 v64, 16, v31
	v_lshrrev_b32_e32 v65, 16, v32
	s_wait_dscnt 0x2
	v_lshrrev_b32_e32 v67, 16, v33
	;; [unrolled: 3-line block ×3, first 2 shown]
	s_wait_dscnt 0x0
	v_lshrrev_b32_e32 v70, 16, v69
.LBB0_15:
	s_wait_alu 0xfffe
	s_or_b32 exec_lo, exec_lo, s1
	v_add_nc_u32_e32 v0, -10, v26
	v_cmp_gt_u32_e64 s1, 10, v26
	v_dual_mov_b32 v36, 0 :: v_dual_and_b32 v3, 0xff, v28
	v_and_b32_e32 v2, 0xff, v20
	s_wait_dscnt 0xe
	v_lshrrev_b32_e32 v99, 16, v51
	s_wait_alu 0xf1ff
	v_cndmask_b32_e64 v92, v0, v26, s1
	s_wait_dscnt 0xd
	v_lshrrev_b32_e32 v100, 16, v42
	s_wait_dscnt 0xc
	v_lshrrev_b32_e32 v102, 16, v55
	v_mul_lo_u16 v2, 0xcd, v2
	s_wait_dscnt 0xb
	v_lshrrev_b32_e32 v103, 16, v40
	v_mul_i32_i24_e32 v35, 7, v92
	s_wait_dscnt 0x8
	v_lshrrev_b32_e32 v88, 16, v75
	s_wait_dscnt 0x5
	v_lshrrev_b32_e32 v85, 16, v53
	v_lshrrev_b16 v93, 11, v2
	v_lshrrev_b32_e32 v86, 16, v56
	v_lshlrev_b64_e32 v[0:1], 2, v[35:36]
	s_wait_dscnt 0x4
	v_lshrrev_b32_e32 v87, 16, v47
	v_lshrrev_b32_e32 v82, 16, v46
	s_wait_dscnt 0x3
	v_lshrrev_b32_e32 v83, 16, v43
	v_lshrrev_b32_e32 v84, 16, v50
	;; [unrolled: 1-line block ×3, first 2 shown]
	v_add_co_u32 v0, s1, s8, v0
	s_wait_alu 0xf1ff
	v_add_co_ci_u32_e64 v1, s1, s9, v1, s1
	v_cmp_lt_u32_e64 s1, 9, v26
	v_lshrrev_b32_e32 v81, 16, v41
	v_lshrrev_b32_e32 v80, 16, v54
	s_clause 0x1
	global_load_b128 v[8:11], v[0:1], off
	global_load_b96 v[89:91], v[0:1], off offset:16
	v_mul_lo_u16 v0, 0xcd, v3
	v_mul_lo_u16 v1, v93, 10
	s_wait_alu 0xf1ff
	v_cndmask_b32_e64 v101, 0, 0x50, s1
	v_mul_lo_u16 v93, 0x50, v93
	v_lshrrev_b32_e32 v79, 16, v39
	v_lshrrev_b16 v94, 11, v0
	v_sub_nc_u16 v95, v20, v1
	v_or_b32_e32 v92, v101, v92
	v_lshrrev_b32_e32 v101, 16, v45
	v_lshrrev_b32_e32 v78, 16, v48
	v_mul_lo_u16 v0, v94, 10
	v_mul_lo_u16 v1, v95, 7
	v_and_b32_e32 v94, 0xffff, v94
	v_lshrrev_b32_e32 v97, 16, v37
	v_lshrrev_b32_e32 v98, 16, v44
	v_sub_nc_u16 v0, v28, v0
	v_and_b32_e32 v1, 0xff, v1
	v_mul_u32_u24_e32 v94, 0x50, v94
	v_or_b32_e32 v93, v93, v95
	s_wait_dscnt 0x0
	v_lshrrev_b32_e32 v95, 16, v74
	v_and_b32_e32 v96, 0xff, v0
	v_lshlrev_b32_e32 v0, 2, v1
	v_lshrrev_b32_e32 v77, 16, v73
	v_lshrrev_b32_e32 v35, 16, v72
	v_lshlrev_b32_e32 v92, 2, v92
	v_mul_u32_u24_e32 v1, 7, v96
	global_load_b128 v[4:7], v0, s[8:9]
	v_or_b32_e32 v94, v94, v96
	v_lshrrev_b32_e32 v96, 16, v38
	v_add3_u32 v92, 0, v92, v59
	v_lshlrev_b32_e32 v15, 2, v1
	s_clause 0x2
	global_load_b96 v[12:14], v0, s[8:9] offset:16
	global_load_b128 v[0:3], v15, s[8:9]
	global_load_b96 v[15:17], v15, s[8:9] offset:16
	global_wb scope:SCOPE_SE
	s_wait_loadcnt 0x0
	s_barrier_signal -1
	s_barrier_wait -1
	global_inv scope:SCOPE_SE
	v_and_b32_e32 v93, 0xff, v93
	v_lshlrev_b32_e32 v94, 2, v94
	s_delay_alu instid0(VALU_DEP_2) | instskip(NEXT) | instid1(VALU_DEP_2)
	v_lshlrev_b32_e32 v93, 2, v93
	v_add3_u32 v94, 0, v94, v59
	s_delay_alu instid0(VALU_DEP_2)
	v_add3_u32 v93, 0, v93, v59
	v_lshrrev_b32_e32 v105, 16, v8
	v_lshrrev_b32_e32 v106, 16, v9
	v_lshrrev_b32_e32 v107, 16, v10
	v_lshrrev_b32_e32 v108, 16, v11
	v_lshrrev_b32_e32 v109, 16, v89
	v_lshrrev_b32_e32 v110, 16, v90
	v_lshrrev_b32_e32 v111, 16, v91
	v_mul_f16_e32 v112, v105, v51
	v_mul_f16_e32 v113, v106, v42
	;; [unrolled: 1-line block ×14, first 2 shown]
	v_fma_f16 v99, v8, v99, -v112
	v_fma_f16 v100, v9, v100, -v113
	;; [unrolled: 1-line block ×4, first 2 shown]
	v_fmac_f16_e32 v105, v8, v51
	v_fmac_f16_e32 v106, v9, v42
	;; [unrolled: 1-line block ×4, first 2 shown]
	v_fma_f16 v8, v89, v101, -v116
	v_fma_f16 v9, v90, v96, -v117
	v_fma_f16 v10, v76, v91, -v118
	v_fmac_f16_e32 v109, v89, v45
	v_fmac_f16_e32 v110, v90, v38
	;; [unrolled: 1-line block ×3, first 2 shown]
	v_lshrrev_b32_e32 v11, 16, v4
	v_lshrrev_b32_e32 v38, 16, v6
	;; [unrolled: 1-line block ×14, first 2 shown]
	v_sub_f16_e32 v108, v75, v108
	v_sub_f16_e32 v103, v88, v103
	;; [unrolled: 1-line block ×8, first 2 shown]
	v_mul_f16_e32 v112, v11, v104
	v_mul_f16_e32 v11, v11, v52
	;; [unrolled: 1-line block ×28, first 2 shown]
	v_fma_f16 v75, v75, 2.0, -v108
	v_fma_f16 v88, v88, 2.0, -v103
	;; [unrolled: 1-line block ×8, first 2 shown]
	v_add_f16_e32 v9, v108, v9
	v_sub_f16_e32 v110, v103, v110
	v_add_f16_e32 v10, v109, v10
	v_sub_f16_e32 v111, v8, v111
	v_fmac_f16_e32 v112, v4, v52
	v_fmac_f16_e32 v113, v56, v6
	v_fma_f16 v4, v4, v104, -v11
	v_fma_f16 v11, v85, v5, -v114
	;; [unrolled: 1-line block ×4, first 2 shown]
	v_fmac_f16_e32 v40, v53, v5
	v_fmac_f16_e32 v42, v47, v7
	;; [unrolled: 1-line block ×4, first 2 shown]
	v_fma_f16 v5, v82, v12, -v45
	v_fma_f16 v7, v83, v13, -v118
	;; [unrolled: 1-line block ×3, first 2 shown]
	v_fmac_f16_e32 v49, v43, v13
	v_fmac_f16_e32 v119, v41, v0
	v_fma_f16 v0, v81, v0, -v55
	v_fmac_f16_e32 v120, v54, v1
	v_fma_f16 v1, v80, v1, -v76
	;; [unrolled: 2-line block ×7, first 2 shown]
	v_sub_f16_e32 v16, v75, v106
	v_sub_f16_e32 v17, v88, v100
	v_fma_f16 v37, v108, 2.0, -v9
	v_fma_f16 v39, v103, 2.0, -v110
	v_sub_f16_e32 v41, v105, v107
	v_sub_f16_e32 v43, v99, v102
	v_fma_f16 v44, v109, 2.0, -v10
	v_fma_f16 v8, v8, 2.0, -v111
	v_fmamk_f16 v45, v10, 0x39a8, v9
	v_fmamk_f16 v46, v111, 0x39a8, v110
	v_sub_f16_e32 v42, v73, v42
	v_sub_f16_e32 v38, v77, v38
	;; [unrolled: 1-line block ×16, first 2 shown]
	v_fma_f16 v54, v75, 2.0, -v16
	v_fma_f16 v55, v88, 2.0, -v17
	v_fma_f16 v56, v105, 2.0, -v41
	v_fma_f16 v74, v99, 2.0, -v43
	v_fmamk_f16 v75, v44, 0xb9a8, v37
	v_fmamk_f16 v76, v8, 0xb9a8, v39
	v_add_f16_e32 v43, v16, v43
	v_sub_f16_e32 v41, v17, v41
	v_fmac_f16_e32 v45, 0x39a8, v111
	v_fmac_f16_e32 v46, 0xb9a8, v10
	v_fma_f16 v10, v73, 2.0, -v42
	v_fma_f16 v73, v77, 2.0, -v38
	;; [unrolled: 1-line block ×8, first 2 shown]
	v_add_f16_e32 v7, v42, v7
	v_sub_f16_e32 v47, v38, v47
	v_add_f16_e32 v12, v48, v12
	v_sub_f16_e32 v49, v5, v49
	v_fma_f16 v72, v72, 2.0, -v50
	v_fma_f16 v35, v35, 2.0, -v3
	;; [unrolled: 1-line block ×8, first 2 shown]
	v_add_f16_e32 v14, v50, v14
	v_sub_f16_e32 v51, v3, v51
	v_add_f16_e32 v15, v52, v15
	v_sub_f16_e32 v53, v13, v53
	v_sub_f16_e32 v56, v54, v56
	v_sub_f16_e32 v74, v55, v74
	v_fmac_f16_e32 v75, 0x39a8, v8
	v_fmac_f16_e32 v76, 0xb9a8, v44
	v_fma_f16 v8, v16, 2.0, -v43
	v_fma_f16 v16, v17, 2.0, -v41
	;; [unrolled: 1-line block ×4, first 2 shown]
	v_pack_b32_f16 v41, v43, v41
	v_pack_b32_f16 v43, v45, v46
	v_sub_f16_e32 v40, v10, v40
	v_sub_f16_e32 v11, v73, v11
	v_fma_f16 v42, v42, 2.0, -v7
	v_fma_f16 v38, v38, 2.0, -v47
	v_sub_f16_e32 v44, v77, v78
	v_sub_f16_e32 v6, v4, v6
	v_fma_f16 v45, v48, 2.0, -v12
	v_fma_f16 v5, v5, 2.0, -v49
	v_fmamk_f16 v46, v12, 0x39a8, v7
	v_fmamk_f16 v48, v49, 0x39a8, v47
	v_sub_f16_e32 v78, v72, v79
	v_sub_f16_e32 v1, v35, v1
	v_fma_f16 v50, v50, 2.0, -v14
	v_fma_f16 v3, v3, 2.0, -v51
	v_sub_f16_e32 v79, v80, v81
	v_sub_f16_e32 v2, v0, v2
	v_fma_f16 v52, v52, 2.0, -v15
	v_fma_f16 v13, v13, 2.0, -v53
	v_fmamk_f16 v82, v53, 0x39a8, v51
	v_fma_f16 v54, v54, 2.0, -v56
	v_fma_f16 v55, v55, 2.0, -v74
	;; [unrolled: 1-line block ×4, first 2 shown]
	v_pack_b32_f16 v8, v8, v16
	v_pack_b32_f16 v9, v9, v17
	;; [unrolled: 1-line block ×3, first 2 shown]
	ds_store_2addr_b32 v92, v41, v43 offset0:60 offset1:70
	v_fma_f16 v10, v10, 2.0, -v40
	v_fma_f16 v41, v73, 2.0, -v11
	;; [unrolled: 1-line block ×4, first 2 shown]
	v_fmamk_f16 v56, v45, 0xb9a8, v42
	v_fmamk_f16 v73, v5, 0xb9a8, v38
	v_pack_b32_f16 v17, v75, v76
	v_fmac_f16_e32 v46, 0x39a8, v49
	v_fmac_f16_e32 v48, 0xb9a8, v12
	v_fma_f16 v12, v72, 2.0, -v78
	v_fma_f16 v35, v35, 2.0, -v1
	;; [unrolled: 1-line block ×4, first 2 shown]
	v_fmamk_f16 v72, v52, 0xb9a8, v50
	v_fmamk_f16 v74, v13, 0xb9a8, v3
	;; [unrolled: 1-line block ×3, first 2 shown]
	v_add_f16_e32 v6, v40, v6
	v_sub_f16_e32 v44, v11, v44
	v_fmac_f16_e32 v82, 0xb9a8, v15
	v_pack_b32_f16 v15, v54, v55
	v_pack_b32_f16 v37, v37, v39
	ds_store_2addr_b32 v92, v8, v9 offset0:20 offset1:30
	ds_store_2addr_b32 v92, v16, v17 offset0:40 offset1:50
	v_sub_f16_e32 v8, v10, v43
	v_sub_f16_e32 v4, v41, v4
	v_fmac_f16_e32 v56, 0x39a8, v5
	v_fmac_f16_e32 v73, 0xb9a8, v45
	v_sub_f16_e32 v16, v12, v49
	v_sub_f16_e32 v0, v35, v0
	v_fmac_f16_e32 v72, 0x39a8, v13
	v_fmac_f16_e32 v74, 0xb9a8, v52
	v_add_f16_e32 v2, v78, v2
	v_sub_f16_e32 v75, v1, v79
	v_fmac_f16_e32 v81, 0x39a8, v53
	v_fma_f16 v5, v40, 2.0, -v6
	v_fma_f16 v9, v11, 2.0, -v44
	;; [unrolled: 1-line block ×4, first 2 shown]
	ds_store_2addr_b32 v92, v15, v37 offset1:10
	v_fma_f16 v10, v10, 2.0, -v8
	v_fma_f16 v15, v41, 2.0, -v4
	;; [unrolled: 1-line block ×12, first 2 shown]
	v_pack_b32_f16 v6, v6, v44
	v_pack_b32_f16 v39, v46, v48
	;; [unrolled: 1-line block ×10, first 2 shown]
	ds_store_2addr_b32 v93, v6, v39 offset0:60 offset1:70
	v_pack_b32_f16 v1, v13, v1
	v_pack_b32_f16 v6, v14, v17
	;; [unrolled: 1-line block ×6, first 2 shown]
	ds_store_2addr_b32 v93, v5, v7 offset0:20 offset1:30
	ds_store_2addr_b32 v93, v4, v8 offset0:40 offset1:50
	ds_store_2addr_b32 v93, v9, v10 offset1:10
	ds_store_2addr_b32 v94, v11, v3 offset1:10
	ds_store_2addr_b32 v94, v1, v6 offset0:20 offset1:30
	ds_store_2addr_b32 v94, v0, v12 offset0:40 offset1:50
	ds_store_2addr_b32 v94, v2, v40 offset0:60 offset1:70
	s_and_saveexec_b32 s1, s0
	s_cbranch_execz .LBB0_17
; %bb.16:
	v_and_b32_e32 v0, 0xff, v19
	s_delay_alu instid0(VALU_DEP_1) | instskip(NEXT) | instid1(VALU_DEP_1)
	v_mul_lo_u16 v0, 0xcd, v0
	v_lshrrev_b16 v7, 11, v0
	s_delay_alu instid0(VALU_DEP_1) | instskip(SKIP_1) | instid1(VALU_DEP_2)
	v_mul_lo_u16 v0, v7, 10
	v_and_b32_e32 v7, 0xffff, v7
	v_sub_nc_u16 v0, v19, v0
	s_delay_alu instid0(VALU_DEP_2) | instskip(NEXT) | instid1(VALU_DEP_2)
	v_mul_u32_u24_e32 v7, 0x50, v7
	v_and_b32_e32 v8, 0xff, v0
	s_delay_alu instid0(VALU_DEP_1) | instskip(NEXT) | instid1(VALU_DEP_3)
	v_mul_u32_u24_e32 v0, 7, v8
	v_or_b32_e32 v7, v7, v8
	v_lshrrev_b32_e32 v8, 16, v29
	s_delay_alu instid0(VALU_DEP_3) | instskip(NEXT) | instid1(VALU_DEP_3)
	v_lshlrev_b32_e32 v4, 2, v0
	v_lshlrev_b32_e32 v7, 2, v7
	s_clause 0x1
	global_load_b128 v[0:3], v4, s[8:9]
	global_load_b96 v[4:6], v4, s[8:9] offset:16
	v_add3_u32 v7, 0, v7, v59
	s_wait_loadcnt 0x1
	v_lshrrev_b32_e32 v9, 16, v0
	v_lshrrev_b32_e32 v10, 16, v1
	;; [unrolled: 1-line block ×4, first 2 shown]
	s_wait_loadcnt 0x0
	v_lshrrev_b32_e32 v13, 16, v5
	v_lshrrev_b32_e32 v14, 16, v4
	;; [unrolled: 1-line block ×3, first 2 shown]
	v_mul_f16_e32 v16, v65, v11
	v_mul_f16_e32 v17, v30, v10
	;; [unrolled: 1-line block ×14, first 2 shown]
	v_fmac_f16_e32 v16, v32, v3
	v_fma_f16 v17, v66, v1, -v17
	v_fma_f16 v32, v71, v5, -v35
	;; [unrolled: 1-line block ×4, first 2 shown]
	v_fmac_f16_e32 v39, v31, v2
	v_fmac_f16_e32 v40, v69, v6
	;; [unrolled: 1-line block ×4, first 2 shown]
	v_fma_f16 v0, v64, v2, -v12
	v_fma_f16 v2, v70, v6, -v15
	;; [unrolled: 1-line block ×3, first 2 shown]
	v_fmac_f16_e32 v10, v30, v1
	v_fmac_f16_e32 v13, v34, v5
	v_sub_f16_e32 v1, v62, v16
	v_sub_f16_e32 v4, v17, v32
	;; [unrolled: 1-line block ×8, first 2 shown]
	v_add_f16_e32 v13, v1, v4
	v_sub_f16_e32 v14, v5, v6
	v_add_f16_e32 v15, v11, v2
	v_fma_f16 v29, v62, 2.0, -v1
	v_sub_f16_e32 v16, v3, v12
	v_fma_f16 v10, v10, 2.0, -v12
	v_fma_f16 v8, v8, 2.0, -v5
	;; [unrolled: 1-line block ×7, first 2 shown]
	v_fmamk_f16 v12, v15, 0x39a8, v13
	v_fmamk_f16 v17, v14, 0x39a8, v16
	v_sub_f16_e32 v10, v29, v10
	v_sub_f16_e32 v0, v8, v0
	;; [unrolled: 1-line block ×4, first 2 shown]
	v_fma_f16 v1, v1, 2.0, -v13
	v_fma_f16 v5, v5, 2.0, -v14
	;; [unrolled: 1-line block ×4, first 2 shown]
	v_fmac_f16_e32 v12, 0x39a8, v14
	v_fmac_f16_e32 v17, 0xb9a8, v15
	v_add_f16_e32 v14, v10, v0
	v_sub_f16_e32 v15, v4, v6
	v_fmamk_f16 v30, v11, 0xb9a8, v1
	v_fmamk_f16 v31, v5, 0xb9a8, v3
	v_fma_f16 v29, v29, 2.0, -v10
	v_fma_f16 v6, v9, 2.0, -v6
	;; [unrolled: 1-line block ×4, first 2 shown]
	v_fmac_f16_e32 v30, 0x39a8, v5
	v_fmac_f16_e32 v31, 0xb9a8, v11
	v_sub_f16_e32 v5, v29, v6
	v_fma_f16 v8, v13, 2.0, -v12
	v_sub_f16_e32 v0, v2, v0
	v_fma_f16 v9, v16, 2.0, -v17
	v_fma_f16 v6, v10, 2.0, -v14
	;; [unrolled: 1-line block ×7, first 2 shown]
	v_pack_b32_f16 v4, v6, v4
	v_pack_b32_f16 v6, v8, v9
	;; [unrolled: 1-line block ×8, first 2 shown]
	ds_store_2addr_b32 v7, v4, v6 offset0:20 offset1:30
	ds_store_2addr_b32 v7, v0, v5 offset0:40 offset1:50
	ds_store_2addr_b32 v7, v2, v1 offset1:10
	ds_store_2addr_b32 v7, v10, v3 offset0:60 offset1:70
.LBB0_17:
	s_wait_alu 0xfffe
	s_or_b32 exec_lo, exec_lo, s1
	v_mul_u32_u24_e32 v0, 5, v26
	v_or_b32_e32 v1, 64, v26
	v_mul_i32_i24_e32 v35, 5, v20
	global_wb scope:SCOPE_SE
	s_wait_dscnt 0x0
	s_barrier_signal -1
	v_lshlrev_b32_e32 v0, 2, v0
	s_barrier_wait -1
	global_inv scope:SCOPE_SE
	v_mul_u32_u24_e32 v2, 5, v1
	v_add3_u32 v3, 0, v68, v59
	s_clause 0x1
	global_load_b128 v[11:14], v0, s[8:9] offset:280
	global_load_b32 v8, v0, s[8:9] offset:296
	v_lshlrev_b64_e32 v[0:1], 2, v[35:36]
	v_lshlrev_b32_e32 v2, 2, v2
	v_mul_i32_i24_e32 v35, 5, v28
	s_mov_b32 s1, exec_lo
	s_delay_alu instid0(VALU_DEP_3)
	v_add_co_u32 v0, s0, s8, v0
	s_wait_alu 0xf1ff
	v_add_co_ci_u32_e64 v1, s0, s9, v1, s0
	s_clause 0x3
	global_load_b128 v[29:32], v2, s[8:9] offset:280
	global_load_b32 v17, v2, s[8:9] offset:296
	global_load_b128 v[37:40], v[0:1], off offset:280
	global_load_b32 v72, v[0:1], off offset:296
	v_lshlrev_b64_e32 v[0:1], 2, v[35:36]
	v_mul_i32_i24_e32 v35, 5, v19
	v_add_nc_u32_e32 v2, 0x400, v27
	s_delay_alu instid0(VALU_DEP_3) | instskip(SKIP_1) | instid1(VALU_DEP_4)
	v_add_co_u32 v0, s0, s8, v0
	s_wait_alu 0xf1ff
	v_add_co_ci_u32_e64 v1, s0, s9, v1, s0
	s_clause 0x1
	global_load_b128 v[41:44], v[0:1], off offset:280
	global_load_b32 v73, v[0:1], off offset:296
	v_lshlrev_b64_e32 v[0:1], 2, v[35:36]
	s_delay_alu instid0(VALU_DEP_1) | instskip(SKIP_1) | instid1(VALU_DEP_2)
	v_add_co_u32 v0, s0, s8, v0
	s_wait_alu 0xf1ff
	v_add_co_ci_u32_e64 v1, s0, s9, v1, s0
	s_clause 0x1
	global_load_b128 v[33:36], v[0:1], off offset:280
	global_load_b32 v74, v[0:1], off offset:296
	ds_load_b32 v75, v58
	ds_load_2addr_b32 v[0:1], v27 offset0:64 offset1:80
	ds_load_2addr_b32 v[15:16], v27 offset0:160 offset1:176
	;; [unrolled: 1-line block ×3, first 2 shown]
	ds_load_b32 v10, v61
	ds_load_2addr_b32 v[47:48], v27 offset0:96 offset1:112
	ds_load_b32 v7, v60
	ds_load_2addr_b32 v[49:50], v27 offset0:192 offset1:208
	ds_load_2addr_b32 v[51:52], v27 offset0:128 offset1:144
	ds_load_2addr_b32 v[53:54], v2 offset0:64 offset1:80
	ds_load_2addr_b32 v[55:56], v2 offset0:128 offset1:144
	ds_load_2addr_b32 v[62:63], v2 offset1:16
	ds_load_2addr_b32 v[64:65], v2 offset0:160 offset1:176
	ds_load_2addr_b32 v[66:67], v2 offset0:96 offset1:112
	ds_load_b32 v5, v3
	ds_load_2addr_b32 v[68:69], v2 offset0:32 offset1:48
	ds_load_2addr_b32 v[70:71], v2 offset0:192 offset1:208
	global_wb scope:SCOPE_SE
	s_wait_loadcnt_dscnt 0x0
	s_barrier_signal -1
	s_barrier_wait -1
	global_inv scope:SCOPE_SE
	v_lshrrev_b32_e32 v88, 16, v53
	v_lshrrev_b32_e32 v9, 16, v1
	;; [unrolled: 1-line block ×35, first 2 shown]
	v_mul_f16_e32 v107, v9, v102
	v_mul_f16_e32 v102, v1, v102
	;; [unrolled: 1-line block ×10, first 2 shown]
	v_lshrrev_b32_e32 v112, 16, v29
	v_lshrrev_b32_e32 v113, 16, v30
	;; [unrolled: 1-line block ×10, first 2 shown]
	v_fma_f16 v102, v9, v11, -v102
	v_fma_f16 v76, v76, v12, -v103
	;; [unrolled: 1-line block ×4, first 2 shown]
	v_fmac_f16_e32 v107, v1, v11
	v_fmac_f16_e32 v108, v15, v12
	;; [unrolled: 1-line block ×5, first 2 shown]
	v_fma_f16 v11, v89, v8, -v106
	v_mul_f16_e32 v1, v86, v112
	v_mul_f16_e32 v12, v52, v112
	v_mul_f16_e32 v13, v87, v113
	v_mul_f16_e32 v14, v45, v113
	v_mul_f16_e32 v9, v99, v114
	v_mul_f16_e32 v15, v69, v114
	v_mul_f16_e32 v46, v100, v115
	v_mul_f16_e32 v53, v55, v115
	v_mul_f16_e32 v8, v101, v116
	v_mul_f16_e32 v56, v71, v116
	v_mul_f16_e32 v89, v79, v117
	v_mul_f16_e32 v103, v47, v117
	v_mul_f16_e32 v104, v80, v118
	v_mul_f16_e32 v105, v16, v118
	v_mul_f16_e32 v106, v90, v119
	v_mul_f16_e32 v112, v62, v119
	v_mul_f16_e32 v113, v91, v120
	v_mul_f16_e32 v114, v54, v120
	v_mul_f16_e32 v115, v92, v121
	v_mul_f16_e32 v116, v64, v121
	v_lshrrev_b32_e32 v117, 16, v41
	v_lshrrev_b32_e32 v118, 16, v42
	;; [unrolled: 1-line block ×5, first 2 shown]
	v_fmac_f16_e32 v13, v45, v30
	v_fmac_f16_e32 v46, v55, v32
	v_fma_f16 v12, v86, v29, -v12
	v_fma_f16 v14, v87, v30, -v14
	;; [unrolled: 1-line block ×4, first 2 shown]
	v_fmac_f16_e32 v1, v52, v29
	v_fmac_f16_e32 v9, v69, v31
	v_fmac_f16_e32 v8, v71, v17
	v_fma_f16 v17, v101, v17, -v56
	v_add_f16_e32 v31, v108, v110
	v_add_f16_e32 v45, v59, v76
	;; [unrolled: 1-line block ×6, first 2 shown]
	v_fmac_f16_e32 v104, v16, v38
	v_fma_f16 v16, v79, v37, -v103
	v_fma_f16 v38, v80, v38, -v105
	v_fmac_f16_e32 v89, v47, v37
	v_fmac_f16_e32 v106, v62, v39
	v_fma_f16 v37, v90, v39, -v112
	v_fmac_f16_e32 v113, v54, v40
	v_fma_f16 v39, v91, v40, -v114
	;; [unrolled: 2-line block ×3, first 2 shown]
	v_mul_f16_e32 v47, v82, v117
	v_mul_f16_e32 v54, v48, v117
	;; [unrolled: 1-line block ×10, first 2 shown]
	v_lshrrev_b32_e32 v91, 16, v33
	v_lshrrev_b32_e32 v92, 16, v34
	;; [unrolled: 1-line block ×4, first 2 shown]
	v_add_f16_e32 v29, v75, v108
	v_sub_f16_e32 v32, v76, v88
	v_sub_f16_e32 v69, v77, v11
	v_add_f16_e32 v76, v77, v11
	v_lshrrev_b32_e32 v101, 16, v74
	v_fmac_f16_e32 v75, -0.5, v31
	v_add_f16_e32 v31, v45, v88
	v_fmac_f16_e32 v59, -0.5, v52
	v_add_f16_e32 v45, v55, v111
	;; [unrolled: 2-line block ×3, first 2 shown]
	v_fmac_f16_e32 v47, v48, v41
	v_fma_f16 v41, v82, v41, -v54
	v_fmac_f16_e32 v62, v49, v42
	v_fma_f16 v42, v83, v42, -v64
	;; [unrolled: 2-line block ×5, first 2 shown]
	v_mul_f16_e32 v49, v84, v91
	v_mul_f16_e32 v52, v51, v91
	;; [unrolled: 1-line block ×8, first 2 shown]
	v_sub_f16_e32 v53, v108, v110
	v_sub_f16_e32 v77, v109, v111
	v_add_f16_e32 v29, v29, v110
	v_fmac_f16_e32 v102, -0.5, v76
	v_mul_f16_e32 v66, v98, v101
	v_mul_f16_e32 v71, v70, v101
	v_add_f16_e32 v73, v10, v104
	v_add_f16_e32 v76, v104, v113
	v_sub_f16_e32 v79, v38, v39
	v_add_f16_e32 v82, v78, v38
	v_add_f16_e32 v38, v38, v39
	;; [unrolled: 1-line block ×3, first 2 shown]
	v_sub_f16_e32 v90, v37, v40
	v_add_f16_e32 v91, v16, v37
	v_add_f16_e32 v37, v37, v40
	;; [unrolled: 1-line block ×3, first 2 shown]
	v_sub_f16_e32 v11, v31, v11
	v_fmac_f16_e32 v49, v51, v33
	v_fma_f16 v31, v84, v33, -v52
	v_fmac_f16_e32 v54, v50, v34
	v_fma_f16 v33, v85, v34, -v55
	;; [unrolled: 2-line block ×4, first 2 shown]
	v_add_f16_e32 v50, v62, v80
	v_sub_f16_e32 v51, v42, v44
	v_add_f16_e32 v52, v81, v42
	v_add_f16_e32 v42, v42, v44
	;; [unrolled: 1-line block ×3, first 2 shown]
	v_sub_f16_e32 v65, v43, v48
	v_add_f16_e32 v67, v41, v43
	v_add_f16_e32 v43, v43, v48
	v_sub_f16_e32 v83, v104, v113
	v_add_f16_e32 v88, v106, v115
	v_sub_f16_e32 v92, v106, v115
	v_fmamk_f16 v93, v32, 0xbaee, v75
	v_fmac_f16_e32 v75, 0x3aee, v32
	v_fmamk_f16 v32, v53, 0x3aee, v59
	v_fmac_f16_e32 v59, 0xbaee, v53
	;; [unrolled: 2-line block ×4, first 2 shown]
	v_add_f16_e32 v77, v29, v45
	v_sub_f16_e32 v29, v29, v45
	v_fmac_f16_e32 v66, v70, v74
	v_fma_f16 v36, v98, v74, -v71
	v_add_f16_e32 v45, v73, v113
	v_fmac_f16_e32 v10, -0.5, v76
	v_add_f16_e32 v39, v82, v39
	v_fmac_f16_e32 v78, -0.5, v38
	v_add_f16_e32 v38, v86, v115
	v_add_f16_e32 v40, v91, v40
	v_fmac_f16_e32 v16, -0.5, v37
	v_add_f16_e32 v37, v7, v62
	v_sub_f16_e32 v55, v62, v80
	v_add_f16_e32 v62, v47, v72
	v_sub_f16_e32 v68, v72, v87
	v_fmac_f16_e32 v7, -0.5, v50
	v_fmac_f16_e32 v81, -0.5, v42
	;; [unrolled: 1-line block ×5, first 2 shown]
	v_mul_f16_e32 v70, 0xbaee, v69
	v_mul_f16_e32 v69, 0.5, v69
	v_fmamk_f16 v73, v79, 0xbaee, v10
	v_fmac_f16_e32 v10, 0x3aee, v79
	v_fmamk_f16 v74, v83, 0x3aee, v78
	v_fmac_f16_e32 v78, 0xbaee, v83
	v_fmamk_f16 v79, v92, 0x3aee, v16
	v_add_f16_e32 v82, v45, v38
	v_add_f16_e32 v83, v39, v40
	v_sub_f16_e32 v38, v45, v38
	v_sub_f16_e32 v39, v39, v40
	v_add_f16_e32 v37, v37, v80
	v_add_f16_e32 v40, v52, v44
	;; [unrolled: 1-line block ×6, first 2 shown]
	v_sub_f16_e32 v48, v33, v35
	v_add_f16_e32 v50, v6, v33
	v_add_f16_e32 v33, v33, v35
	;; [unrolled: 1-line block ×3, first 2 shown]
	v_sub_f16_e32 v63, v34, v36
	v_add_f16_e32 v67, v31, v34
	v_add_f16_e32 v34, v34, v36
	v_fmamk_f16 v84, v51, 0xbaee, v7
	v_fmac_f16_e32 v7, 0x3aee, v51
	v_fmamk_f16 v51, v55, 0x3aee, v81
	v_fmac_f16_e32 v81, 0xbaee, v55
	;; [unrolled: 2-line block ×4, first 2 shown]
	v_fmamk_f16 v76, v90, 0xbaee, v89
	v_sub_f16_e32 v52, v54, v64
	v_add_f16_e32 v54, v49, v56
	v_sub_f16_e32 v56, v56, v66
	v_fmac_f16_e32 v70, 0.5, v53
	v_fmac_f16_e32 v69, 0x3aee, v53
	v_mul_f16_e32 v53, 0xbaee, v79
	v_add_f16_e32 v68, v37, v42
	v_sub_f16_e32 v37, v37, v42
	v_add_f16_e32 v42, v43, v64
	v_fmac_f16_e32 v5, -0.5, v45
	v_fmac_f16_e32 v6, -0.5, v33
	;; [unrolled: 1-line block ×4, first 2 shown]
	v_mul_f16_e32 v62, 0xbaee, v65
	v_mul_f16_e32 v64, 0xbaee, v41
	v_mul_f16_e32 v65, 0.5, v65
	v_mul_f16_e32 v71, 0xbaee, v102
	v_fmac_f16_e32 v16, 0xbaee, v92
	v_add_f16_e32 v33, v54, v66
	v_fmac_f16_e32 v53, 0.5, v76
	v_fmamk_f16 v66, v48, 0xbaee, v5
	v_fmac_f16_e32 v5, 0x3aee, v48
	v_fmamk_f16 v48, v52, 0x3aee, v6
	v_fmac_f16_e32 v6, 0xbaee, v52
	;; [unrolled: 2-line block ×4, first 2 shown]
	v_fmac_f16_e32 v64, -0.5, v47
	v_fmac_f16_e32 v65, 0x3aee, v55
	v_fmac_f16_e32 v89, 0x3aee, v90
	v_fmac_f16_e32 v71, -0.5, v107
	v_mul_f16_e32 v80, 0xbaee, v16
	v_mul_f16_e32 v16, -0.5, v16
	v_add_f16_e32 v35, v50, v35
	v_add_f16_e32 v56, v73, v53
	v_sub_f16_e32 v53, v73, v53
	v_fmac_f16_e32 v62, 0.5, v55
	v_add_f16_e32 v55, v7, v64
	v_add_f16_e32 v73, v51, v65
	v_sub_f16_e32 v7, v7, v64
	v_sub_f16_e32 v51, v51, v65
	v_mul_f16_e32 v64, 0xbaee, v63
	v_mul_f16_e32 v65, 0xbaee, v31
	v_add_f16_e32 v36, v67, v36
	v_mul_f16_e32 v63, 0.5, v63
	v_mul_f16_e32 v31, -0.5, v31
	v_mul_f16_e32 v79, 0.5, v79
	v_add_f16_e32 v43, v75, v71
	v_sub_f16_e32 v54, v75, v71
	v_fmac_f16_e32 v16, 0x3aee, v89
	v_fmac_f16_e32 v63, 0x3aee, v52
	;; [unrolled: 1-line block ×3, first 2 shown]
	v_add_f16_e32 v75, v35, v36
	v_sub_f16_e32 v35, v35, v36
	v_add_f16_e32 v36, v13, v46
	v_fmac_f16_e32 v79, 0x3aee, v76
	v_add_f16_e32 v71, v78, v16
	v_sub_f16_e32 v16, v78, v16
	v_add_f16_e32 v76, v48, v63
	v_add_f16_e32 v78, v6, v31
	v_sub_f16_e32 v48, v48, v63
	v_add_f16_e32 v63, v0, v13
	v_sub_f16_e32 v6, v6, v31
	v_add_f16_e32 v31, v14, v30
	v_fmac_f16_e32 v0, -0.5, v36
	v_sub_f16_e32 v36, v14, v30
	v_fmac_f16_e32 v64, 0.5, v52
	v_add_f16_e32 v14, v4, v14
	v_fmac_f16_e32 v4, -0.5, v31
	v_fmac_f16_e32 v65, -0.5, v49
	v_fmamk_f16 v31, v36, 0xbaee, v0
	v_fmac_f16_e32 v0, 0x3aee, v36
	v_add_f16_e32 v36, v15, v17
	v_add_f16_e32 v67, v42, v33
	;; [unrolled: 1-line block ×3, first 2 shown]
	v_sub_f16_e32 v33, v42, v33
	v_sub_f16_e32 v42, v66, v64
	v_add_f16_e32 v63, v63, v46
	v_sub_f16_e32 v13, v13, v46
	v_add_f16_e32 v46, v9, v8
	v_add_f16_e32 v64, v12, v15
	v_fmac_f16_e32 v12, -0.5, v36
	v_sub_f16_e32 v36, v9, v8
	v_mul_f16_e32 v72, -0.5, v102
	v_add_f16_e32 v14, v14, v30
	v_fmamk_f16 v30, v13, 0x3aee, v4
	v_add_f16_e32 v9, v1, v9
	v_fmac_f16_e32 v1, -0.5, v46
	v_sub_f16_e32 v15, v15, v17
	v_fmac_f16_e32 v4, 0xbaee, v13
	v_fmamk_f16 v13, v36, 0x3aee, v12
	v_fmac_f16_e32 v12, 0xbaee, v36
	v_fmac_f16_e32 v72, 0x3aee, v107
	v_add_f16_e32 v8, v9, v8
	v_fmamk_f16 v9, v15, 0xbaee, v1
	v_fmac_f16_e32 v1, 0x3aee, v15
	v_mul_f16_e32 v36, 0xbaee, v12
	v_mul_f16_e32 v12, -0.5, v12
	v_mul_f16_e32 v15, 0xbaee, v13
	v_mul_f16_e32 v13, 0.5, v13
	v_add_f16_e32 v85, v40, v44
	v_sub_f16_e32 v40, v40, v44
	v_add_f16_e32 v34, v93, v70
	v_add_f16_e32 v44, v32, v69
	;; [unrolled: 1-line block ×3, first 2 shown]
	v_mul_f16_e32 v41, -0.5, v41
	v_add_f16_e32 v17, v64, v17
	v_fmac_f16_e32 v12, 0x3aee, v1
	v_sub_f16_e32 v50, v93, v70
	v_sub_f16_e32 v32, v32, v69
	v_fmac_f16_e32 v13, 0x3aee, v9
	v_fmac_f16_e32 v80, -0.5, v89
	v_fmac_f16_e32 v15, 0.5, v9
	v_sub_f16_e32 v59, v59, v72
	v_fmac_f16_e32 v41, 0x3aee, v47
	v_add_f16_e32 v64, v14, v17
	v_add_f16_e32 v66, v4, v12
	v_sub_f16_e32 v14, v14, v17
	v_sub_f16_e32 v4, v4, v12
	v_pack_b32_f16 v12, v34, v44
	v_pack_b32_f16 v17, v43, v45
	v_add_f16_e32 v70, v74, v79
	v_add_f16_e32 v52, v5, v65
	v_sub_f16_e32 v5, v5, v65
	v_add_f16_e32 v65, v30, v13
	v_sub_f16_e32 v13, v30, v13
	v_pack_b32_f16 v11, v29, v11
	v_pack_b32_f16 v29, v50, v32
	v_add_nc_u32_e32 v30, 0x200, v27
	v_add_f16_e32 v69, v10, v80
	v_sub_f16_e32 v10, v10, v80
	v_sub_f16_e32 v72, v74, v79
	v_add_f16_e32 v47, v84, v62
	v_fmac_f16_e32 v36, -0.5, v1
	v_add_f16_e32 v1, v31, v15
	v_sub_f16_e32 v15, v31, v15
	v_pack_b32_f16 v31, v77, v94
	v_add_f16_e32 v74, v81, v41
	ds_store_2addr_b32 v27, v12, v17 offset0:80 offset1:160
	ds_store_2addr_b32 v30, v11, v29 offset0:112 offset1:192
	v_pack_b32_f16 v11, v54, v59
	v_sub_f16_e32 v62, v84, v62
	v_sub_f16_e32 v41, v81, v41
	v_pack_b32_f16 v12, v82, v83
	v_pack_b32_f16 v17, v56, v70
	;; [unrolled: 1-line block ×6, first 2 shown]
	v_add_nc_u32_e32 v16, 0x400, v61
	ds_store_b32 v27, v31
	ds_store_b32 v27, v11 offset:1600
	ds_store_2addr_b32 v61, v12, v17 offset1:80
	ds_store_2addr_b32 v61, v29, v30 offset0:160 offset1:240
	ds_store_2addr_b32 v16, v32, v10 offset0:64 offset1:144
	v_pack_b32_f16 v10, v68, v85
	v_pack_b32_f16 v11, v47, v73
	v_add_f16_e32 v9, v0, v36
	v_pack_b32_f16 v12, v55, v74
	v_pack_b32_f16 v16, v37, v40
	v_add_f16_e32 v46, v63, v8
	v_sub_f16_e32 v8, v63, v8
	v_pack_b32_f16 v17, v62, v51
	v_pack_b32_f16 v7, v7, v41
	v_add_nc_u32_e32 v29, 0x400, v60
	v_pack_b32_f16 v30, v67, v75
	v_pack_b32_f16 v31, v49, v76
	v_sub_f16_e32 v0, v0, v36
	v_pack_b32_f16 v32, v52, v78
	v_pack_b32_f16 v33, v33, v35
	ds_store_2addr_b32 v60, v10, v11 offset1:80
	ds_store_2addr_b32 v60, v12, v16 offset0:160 offset1:240
	ds_store_2addr_b32 v29, v17, v7 offset0:64 offset1:144
	ds_store_2addr_b32 v3, v30, v31 offset1:80
	ds_store_2addr_b32 v3, v32, v33 offset0:160 offset1:240
	v_pack_b32_f16 v7, v42, v48
	v_pack_b32_f16 v5, v5, v6
	v_add_nc_u32_e32 v3, 0x400, v3
	v_pack_b32_f16 v1, v1, v65
	v_pack_b32_f16 v6, v9, v66
	v_pack_b32_f16 v8, v8, v14
	v_pack_b32_f16 v9, v15, v13
	v_pack_b32_f16 v10, v46, v64
	v_pack_b32_f16 v0, v0, v4
	ds_store_2addr_b32 v3, v7, v5 offset0:64 offset1:144
	ds_store_2addr_b32 v27, v1, v6 offset0:144 offset1:224
	;; [unrolled: 1-line block ×3, first 2 shown]
	ds_store_b32 v27, v10 offset:256
	ds_store_b32 v27, v0 offset:1856
	global_wb scope:SCOPE_SE
	s_wait_dscnt 0x0
	s_barrier_signal -1
	s_barrier_wait -1
	global_inv scope:SCOPE_SE
	ds_load_b32 v4, v58
	v_sub_nc_u32_e32 v0, v57, v21
                                        ; implicit-def: $vgpr3
                                        ; implicit-def: $vgpr1
                                        ; implicit-def: $vgpr2
	s_wait_dscnt 0x0
	v_lshrrev_b32_e32 v5, 16, v4
	v_cmpx_ne_u32_e32 0, v26
	s_wait_alu 0xfffe
	s_xor_b32 s1, exec_lo, s1
	s_cbranch_execz .LBB0_19
; %bb.18:
	v_mov_b32_e32 v27, 0
	s_delay_alu instid0(VALU_DEP_1) | instskip(NEXT) | instid1(VALU_DEP_1)
	v_lshlrev_b64_e32 v[1:2], 2, v[26:27]
	v_add_co_u32 v1, s0, s8, v1
	s_wait_alu 0xf1ff
	s_delay_alu instid0(VALU_DEP_2)
	v_add_co_ci_u32_e64 v2, s0, s9, v2, s0
	global_load_b32 v3, v[1:2], off offset:1880
	ds_load_b32 v1, v0 offset:1920
	s_wait_dscnt 0x0
	v_lshrrev_b32_e32 v2, 16, v1
	v_sub_f16_e32 v6, v4, v1
	v_add_f16_e32 v1, v1, v4
	s_delay_alu instid0(VALU_DEP_3) | instskip(SKIP_1) | instid1(VALU_DEP_4)
	v_add_f16_e32 v7, v2, v5
	v_sub_f16_e32 v2, v5, v2
	v_mul_f16_e32 v5, 0.5, v6
	s_delay_alu instid0(VALU_DEP_3) | instskip(NEXT) | instid1(VALU_DEP_3)
	v_mul_f16_e32 v4, 0.5, v7
	v_mul_f16_e32 v2, 0.5, v2
	s_wait_loadcnt 0x0
	v_lshrrev_b32_e32 v6, 16, v3
	s_delay_alu instid0(VALU_DEP_1) | instskip(NEXT) | instid1(VALU_DEP_3)
	v_mul_f16_e32 v7, v6, v5
	v_fma_f16 v8, v4, v6, v2
	v_fma_f16 v6, v4, v6, -v2
	s_delay_alu instid0(VALU_DEP_3) | instskip(SKIP_1) | instid1(VALU_DEP_4)
	v_fma_f16 v9, 0.5, v1, v7
	v_fma_f16 v1, v1, 0.5, -v7
	v_fma_f16 v2, -v3, v5, v8
	s_delay_alu instid0(VALU_DEP_3) | instskip(NEXT) | instid1(VALU_DEP_3)
	v_fmac_f16_e32 v9, v3, v4
	v_fma_f16 v1, -v3, v4, v1
	v_fma_f16 v3, -v3, v5, v6
                                        ; implicit-def: $vgpr5
                                        ; implicit-def: $vgpr4
	ds_store_b16 v58, v9
.LBB0_19:
	s_wait_alu 0xfffe
	s_and_not1_saveexec_b32 s0, s1
	s_cbranch_execz .LBB0_21
; %bb.20:
	ds_load_u16 v2, v57 offset:962
	v_dual_mov_b32 v26, 0 :: v_dual_mov_b32 v3, 0
	v_add_f16_e32 v6, v5, v4
	v_sub_f16_e32 v1, v4, v5
	v_mov_b32_e32 v27, 0
	s_wait_dscnt 0x0
	v_xor_b32_e32 v4, 0x8000, v2
	v_mov_b32_e32 v2, 0
	ds_store_b16 v58, v6
	ds_store_b16 v57, v4 offset:962
.LBB0_21:
	s_wait_alu 0xfffe
	s_or_b32 exec_lo, exec_lo, s0
	v_mov_b32_e32 v21, 0
	v_perm_b32 v1, v3, v1, 0x5040100
	s_delay_alu instid0(VALU_DEP_2) | instskip(SKIP_1) | instid1(VALU_DEP_2)
	v_lshlrev_b64_e32 v[4:5], 2, v[20:21]
	v_dual_mov_b32 v29, v21 :: v_dual_mov_b32 v20, v21
	v_add_co_u32 v4, s0, s8, v4
	s_wait_alu 0xf1ff
	s_delay_alu instid0(VALU_DEP_3) | instskip(SKIP_2) | instid1(VALU_DEP_1)
	v_add_co_ci_u32_e64 v5, s0, s9, v5, s0
	global_load_b32 v6, v[4:5], off offset:1880
	v_lshlrev_b64_e32 v[4:5], 2, v[28:29]
	v_add_co_u32 v4, s0, s8, v4
	s_wait_alu 0xf1ff
	s_delay_alu instid0(VALU_DEP_2) | instskip(SKIP_2) | instid1(VALU_DEP_1)
	v_add_co_ci_u32_e64 v5, s0, s9, v5, s0
	global_load_b32 v7, v[4:5], off offset:1880
	v_lshlrev_b64_e32 v[4:5], 2, v[19:20]
	v_add_co_u32 v4, s0, s8, v4
	s_wait_alu 0xf1ff
	s_delay_alu instid0(VALU_DEP_2) | instskip(SKIP_4) | instid1(VALU_DEP_1)
	v_add_co_ci_u32_e64 v5, s0, s9, v5, s0
	s_add_nc_u64 s[0:1], s[8:9], 0x758
	global_load_b32 v8, v[4:5], off offset:1880
	v_lshlrev_b64_e32 v[4:5], 2, v[26:27]
	s_wait_alu 0xfffe
	v_add_co_u32 v4, s0, s0, v4
	s_wait_alu 0xf1ff
	s_delay_alu instid0(VALU_DEP_2)
	v_add_co_ci_u32_e64 v5, s0, s1, v5, s0
	s_clause 0x1
	global_load_b32 v9, v[4:5], off offset:256
	global_load_b32 v10, v[4:5], off offset:320
	ds_store_b16 v58, v2 offset:2
	ds_store_b32 v0, v1 offset:1920
	ds_load_b32 v1, v61
	ds_load_b32 v2, v0 offset:1856
	global_load_b32 v3, v[4:5], off offset:384
	s_wait_dscnt 0x0
	v_pk_add_f16 v11, v1, v2 neg_lo:[0,1] neg_hi:[0,1]
	v_pk_add_f16 v1, v1, v2
	s_delay_alu instid0(VALU_DEP_1)
	v_bfi_b32 v2, 0xffff, v11, v1
	v_bfi_b32 v1, 0xffff, v1, v11
	s_clause 0x1
	global_load_b32 v11, v[4:5], off offset:448
	global_load_b32 v12, v[4:5], off offset:512
	v_pk_mul_f16 v2, v2, 0.5 op_sel_hi:[1,0]
	v_pk_mul_f16 v1, v1, 0.5 op_sel_hi:[1,0]
	s_wait_loadcnt 0x7
	s_delay_alu instid0(VALU_DEP_1) | instskip(SKIP_3) | instid1(VALU_DEP_3)
	v_pk_fma_f16 v13, v6, v2, v1 op_sel:[1,0,0]
	v_pk_mul_f16 v14, v6, v2 op_sel_hi:[0,1]
	v_pk_fma_f16 v15, v6, v2, v1 op_sel:[1,0,0] neg_lo:[1,0,0] neg_hi:[1,0,0]
	v_pk_fma_f16 v1, v6, v2, v1 op_sel:[1,0,0] neg_lo:[0,0,1] neg_hi:[0,0,1]
	v_pk_add_f16 v2, v13, v14 op_sel:[0,1] op_sel_hi:[1,0]
	v_pk_add_f16 v6, v13, v14 op_sel:[0,1] op_sel_hi:[1,0] neg_lo:[0,1] neg_hi:[0,1]
	s_delay_alu instid0(VALU_DEP_4) | instskip(NEXT) | instid1(VALU_DEP_4)
	v_pk_add_f16 v13, v15, v14 op_sel:[0,1] op_sel_hi:[1,0] neg_lo:[0,1] neg_hi:[0,1]
	v_pk_add_f16 v1, v1, v14 op_sel:[0,1] op_sel_hi:[1,0] neg_lo:[0,1] neg_hi:[0,1]
	s_delay_alu instid0(VALU_DEP_3) | instskip(NEXT) | instid1(VALU_DEP_2)
	v_bfi_b32 v2, 0xffff, v2, v6
	v_bfi_b32 v1, 0xffff, v13, v1
	ds_store_b32 v61, v2
	ds_store_b32 v0, v1 offset:1856
	ds_load_b32 v1, v60
	ds_load_b32 v2, v0 offset:1792
	s_wait_dscnt 0x0
	v_pk_add_f16 v6, v1, v2 neg_lo:[0,1] neg_hi:[0,1]
	v_pk_add_f16 v1, v1, v2
	s_delay_alu instid0(VALU_DEP_1) | instskip(SKIP_1) | instid1(VALU_DEP_2)
	v_bfi_b32 v2, 0xffff, v6, v1
	v_bfi_b32 v1, 0xffff, v1, v6
	v_pk_mul_f16 v2, v2, 0.5 op_sel_hi:[1,0]
	s_delay_alu instid0(VALU_DEP_2) | instskip(SKIP_1) | instid1(VALU_DEP_2)
	v_pk_mul_f16 v1, v1, 0.5 op_sel_hi:[1,0]
	s_wait_loadcnt 0x6
	v_pk_mul_f16 v13, v7, v2 op_sel_hi:[0,1]
	s_delay_alu instid0(VALU_DEP_2) | instskip(SKIP_2) | instid1(VALU_DEP_3)
	v_pk_fma_f16 v6, v7, v2, v1 op_sel:[1,0,0]
	v_pk_fma_f16 v14, v7, v2, v1 op_sel:[1,0,0] neg_lo:[1,0,0] neg_hi:[1,0,0]
	v_pk_fma_f16 v1, v7, v2, v1 op_sel:[1,0,0] neg_lo:[0,0,1] neg_hi:[0,0,1]
	v_pk_add_f16 v2, v6, v13 op_sel:[0,1] op_sel_hi:[1,0]
	v_pk_add_f16 v6, v6, v13 op_sel:[0,1] op_sel_hi:[1,0] neg_lo:[0,1] neg_hi:[0,1]
	s_delay_alu instid0(VALU_DEP_4) | instskip(NEXT) | instid1(VALU_DEP_4)
	v_pk_add_f16 v7, v14, v13 op_sel:[0,1] op_sel_hi:[1,0] neg_lo:[0,1] neg_hi:[0,1]
	v_pk_add_f16 v1, v1, v13 op_sel:[0,1] op_sel_hi:[1,0] neg_lo:[0,1] neg_hi:[0,1]
	s_delay_alu instid0(VALU_DEP_3) | instskip(SKIP_1) | instid1(VALU_DEP_3)
	v_bfi_b32 v2, 0xffff, v2, v6
	v_lshl_add_u32 v6, v19, 2, v57
	v_bfi_b32 v1, 0xffff, v7, v1
	ds_store_b32 v60, v2
	ds_store_b32 v0, v1 offset:1792
	ds_load_b32 v1, v6
	ds_load_b32 v2, v0 offset:1728
	s_wait_dscnt 0x0
	v_pk_add_f16 v7, v1, v2 neg_lo:[0,1] neg_hi:[0,1]
	v_pk_add_f16 v1, v1, v2
	s_delay_alu instid0(VALU_DEP_1) | instskip(SKIP_1) | instid1(VALU_DEP_2)
	v_bfi_b32 v2, 0xffff, v7, v1
	v_bfi_b32 v1, 0xffff, v1, v7
	v_pk_mul_f16 v2, v2, 0.5 op_sel_hi:[1,0]
	s_delay_alu instid0(VALU_DEP_2) | instskip(SKIP_1) | instid1(VALU_DEP_2)
	v_pk_mul_f16 v1, v1, 0.5 op_sel_hi:[1,0]
	s_wait_loadcnt 0x5
	v_pk_mul_f16 v13, v8, v2 op_sel_hi:[0,1]
	s_delay_alu instid0(VALU_DEP_2) | instskip(SKIP_2) | instid1(VALU_DEP_3)
	v_pk_fma_f16 v7, v8, v2, v1 op_sel:[1,0,0]
	v_pk_fma_f16 v14, v8, v2, v1 op_sel:[1,0,0] neg_lo:[1,0,0] neg_hi:[1,0,0]
	v_pk_fma_f16 v1, v8, v2, v1 op_sel:[1,0,0] neg_lo:[0,0,1] neg_hi:[0,0,1]
	v_pk_add_f16 v2, v7, v13 op_sel:[0,1] op_sel_hi:[1,0]
	v_pk_add_f16 v7, v7, v13 op_sel:[0,1] op_sel_hi:[1,0] neg_lo:[0,1] neg_hi:[0,1]
	s_delay_alu instid0(VALU_DEP_4) | instskip(NEXT) | instid1(VALU_DEP_4)
	v_pk_add_f16 v8, v14, v13 op_sel:[0,1] op_sel_hi:[1,0] neg_lo:[0,1] neg_hi:[0,1]
	v_pk_add_f16 v1, v1, v13 op_sel:[0,1] op_sel_hi:[1,0] neg_lo:[0,1] neg_hi:[0,1]
	s_delay_alu instid0(VALU_DEP_3) | instskip(NEXT) | instid1(VALU_DEP_2)
	v_bfi_b32 v2, 0xffff, v2, v7
	v_bfi_b32 v1, 0xffff, v8, v1
	ds_store_b32 v6, v2
	ds_store_b32 v0, v1 offset:1728
	ds_load_b32 v1, v58 offset:256
	ds_load_b32 v2, v0 offset:1664
	global_load_b32 v6, v[4:5], off offset:576
	s_wait_dscnt 0x0
	v_pk_add_f16 v7, v1, v2 neg_lo:[0,1] neg_hi:[0,1]
	v_pk_add_f16 v1, v1, v2
	s_delay_alu instid0(VALU_DEP_1) | instskip(SKIP_1) | instid1(VALU_DEP_2)
	v_bfi_b32 v2, 0xffff, v7, v1
	v_bfi_b32 v1, 0xffff, v1, v7
	v_pk_mul_f16 v2, v2, 0.5 op_sel_hi:[1,0]
	s_delay_alu instid0(VALU_DEP_2) | instskip(SKIP_1) | instid1(VALU_DEP_2)
	v_pk_mul_f16 v1, v1, 0.5 op_sel_hi:[1,0]
	s_wait_loadcnt 0x5
	v_pk_mul_f16 v8, v9, v2 op_sel_hi:[0,1]
	s_delay_alu instid0(VALU_DEP_2) | instskip(SKIP_2) | instid1(VALU_DEP_3)
	v_pk_fma_f16 v7, v9, v2, v1 op_sel:[1,0,0]
	v_pk_fma_f16 v13, v9, v2, v1 op_sel:[1,0,0] neg_lo:[1,0,0] neg_hi:[1,0,0]
	v_pk_fma_f16 v1, v9, v2, v1 op_sel:[1,0,0] neg_lo:[0,0,1] neg_hi:[0,0,1]
	v_pk_add_f16 v2, v7, v8 op_sel:[0,1] op_sel_hi:[1,0]
	v_pk_add_f16 v7, v7, v8 op_sel:[0,1] op_sel_hi:[1,0] neg_lo:[0,1] neg_hi:[0,1]
	s_delay_alu instid0(VALU_DEP_4) | instskip(NEXT) | instid1(VALU_DEP_4)
	v_pk_add_f16 v9, v13, v8 op_sel:[0,1] op_sel_hi:[1,0] neg_lo:[0,1] neg_hi:[0,1]
	v_pk_add_f16 v1, v1, v8 op_sel:[0,1] op_sel_hi:[1,0] neg_lo:[0,1] neg_hi:[0,1]
	s_delay_alu instid0(VALU_DEP_3) | instskip(NEXT) | instid1(VALU_DEP_2)
	v_bfi_b32 v2, 0xffff, v2, v7
	v_bfi_b32 v1, 0xffff, v9, v1
	ds_store_b32 v58, v2 offset:256
	ds_store_b32 v0, v1 offset:1664
	ds_load_b32 v1, v58 offset:320
	ds_load_b32 v2, v0 offset:1600
	global_load_b32 v7, v[4:5], off offset:640
	s_wait_dscnt 0x0
	v_pk_add_f16 v8, v1, v2 neg_lo:[0,1] neg_hi:[0,1]
	v_pk_add_f16 v1, v1, v2
	s_delay_alu instid0(VALU_DEP_1) | instskip(SKIP_1) | instid1(VALU_DEP_2)
	v_bfi_b32 v2, 0xffff, v8, v1
	v_bfi_b32 v1, 0xffff, v1, v8
	v_pk_mul_f16 v2, v2, 0.5 op_sel_hi:[1,0]
	s_delay_alu instid0(VALU_DEP_2) | instskip(SKIP_1) | instid1(VALU_DEP_2)
	v_pk_mul_f16 v1, v1, 0.5 op_sel_hi:[1,0]
	s_wait_loadcnt 0x5
	v_pk_mul_f16 v9, v10, v2 op_sel_hi:[0,1]
	s_delay_alu instid0(VALU_DEP_2) | instskip(SKIP_2) | instid1(VALU_DEP_3)
	v_pk_fma_f16 v8, v10, v2, v1 op_sel:[1,0,0]
	v_pk_fma_f16 v13, v10, v2, v1 op_sel:[1,0,0] neg_lo:[1,0,0] neg_hi:[1,0,0]
	v_pk_fma_f16 v1, v10, v2, v1 op_sel:[1,0,0] neg_lo:[0,0,1] neg_hi:[0,0,1]
	v_pk_add_f16 v2, v8, v9 op_sel:[0,1] op_sel_hi:[1,0]
	v_pk_add_f16 v8, v8, v9 op_sel:[0,1] op_sel_hi:[1,0] neg_lo:[0,1] neg_hi:[0,1]
	s_delay_alu instid0(VALU_DEP_4) | instskip(NEXT) | instid1(VALU_DEP_4)
	v_pk_add_f16 v10, v13, v9 op_sel:[0,1] op_sel_hi:[1,0] neg_lo:[0,1] neg_hi:[0,1]
	v_pk_add_f16 v1, v1, v9 op_sel:[0,1] op_sel_hi:[1,0] neg_lo:[0,1] neg_hi:[0,1]
	s_delay_alu instid0(VALU_DEP_3) | instskip(NEXT) | instid1(VALU_DEP_2)
	v_bfi_b32 v2, 0xffff, v2, v8
	v_bfi_b32 v1, 0xffff, v10, v1
	ds_store_b32 v58, v2 offset:320
	;; [unrolled: 28-line block ×5, first 2 shown]
	ds_store_b32 v0, v1 offset:1408
	ds_load_b32 v1, v58 offset:576
	ds_load_b32 v2, v0 offset:1344
	global_load_b32 v4, v[4:5], off offset:896
	s_wait_dscnt 0x0
	v_pk_add_f16 v5, v1, v2 neg_lo:[0,1] neg_hi:[0,1]
	v_pk_add_f16 v1, v1, v2
	s_delay_alu instid0(VALU_DEP_1) | instskip(SKIP_1) | instid1(VALU_DEP_2)
	v_bfi_b32 v2, 0xffff, v5, v1
	v_bfi_b32 v1, 0xffff, v1, v5
	v_pk_mul_f16 v2, v2, 0.5 op_sel_hi:[1,0]
	s_delay_alu instid0(VALU_DEP_2) | instskip(SKIP_1) | instid1(VALU_DEP_1)
	v_pk_mul_f16 v1, v1, 0.5 op_sel_hi:[1,0]
	s_wait_loadcnt 0x5
	v_pk_fma_f16 v5, v6, v2, v1 op_sel:[1,0,0]
	v_pk_mul_f16 v10, v6, v2 op_sel_hi:[0,1]
	v_pk_fma_f16 v11, v6, v2, v1 op_sel:[1,0,0] neg_lo:[1,0,0] neg_hi:[1,0,0]
	v_pk_fma_f16 v1, v6, v2, v1 op_sel:[1,0,0] neg_lo:[0,0,1] neg_hi:[0,0,1]
	s_delay_alu instid0(VALU_DEP_3) | instskip(SKIP_1) | instid1(VALU_DEP_4)
	v_pk_add_f16 v2, v5, v10 op_sel:[0,1] op_sel_hi:[1,0]
	v_pk_add_f16 v5, v5, v10 op_sel:[0,1] op_sel_hi:[1,0] neg_lo:[0,1] neg_hi:[0,1]
	v_pk_add_f16 v6, v11, v10 op_sel:[0,1] op_sel_hi:[1,0] neg_lo:[0,1] neg_hi:[0,1]
	s_delay_alu instid0(VALU_DEP_4) | instskip(NEXT) | instid1(VALU_DEP_3)
	v_pk_add_f16 v1, v1, v10 op_sel:[0,1] op_sel_hi:[1,0] neg_lo:[0,1] neg_hi:[0,1]
	v_bfi_b32 v2, 0xffff, v2, v5
	s_delay_alu instid0(VALU_DEP_2)
	v_bfi_b32 v1, 0xffff, v6, v1
	ds_store_b32 v58, v2 offset:576
	ds_store_b32 v0, v1 offset:1344
	ds_load_b32 v1, v58 offset:640
	ds_load_b32 v2, v0 offset:1280
	s_wait_dscnt 0x0
	v_pk_add_f16 v5, v1, v2 neg_lo:[0,1] neg_hi:[0,1]
	v_pk_add_f16 v1, v1, v2
	s_delay_alu instid0(VALU_DEP_1) | instskip(SKIP_1) | instid1(VALU_DEP_2)
	v_bfi_b32 v2, 0xffff, v5, v1
	v_bfi_b32 v1, 0xffff, v1, v5
	v_pk_mul_f16 v2, v2, 0.5 op_sel_hi:[1,0]
	s_delay_alu instid0(VALU_DEP_2) | instskip(SKIP_1) | instid1(VALU_DEP_2)
	v_pk_mul_f16 v1, v1, 0.5 op_sel_hi:[1,0]
	s_wait_loadcnt 0x4
	v_pk_mul_f16 v6, v7, v2 op_sel_hi:[0,1]
	s_delay_alu instid0(VALU_DEP_2) | instskip(SKIP_2) | instid1(VALU_DEP_3)
	v_pk_fma_f16 v5, v7, v2, v1 op_sel:[1,0,0]
	v_pk_fma_f16 v10, v7, v2, v1 op_sel:[1,0,0] neg_lo:[1,0,0] neg_hi:[1,0,0]
	v_pk_fma_f16 v1, v7, v2, v1 op_sel:[1,0,0] neg_lo:[0,0,1] neg_hi:[0,0,1]
	v_pk_add_f16 v2, v5, v6 op_sel:[0,1] op_sel_hi:[1,0]
	v_pk_add_f16 v5, v5, v6 op_sel:[0,1] op_sel_hi:[1,0] neg_lo:[0,1] neg_hi:[0,1]
	s_delay_alu instid0(VALU_DEP_4) | instskip(NEXT) | instid1(VALU_DEP_4)
	v_pk_add_f16 v7, v10, v6 op_sel:[0,1] op_sel_hi:[1,0] neg_lo:[0,1] neg_hi:[0,1]
	v_pk_add_f16 v1, v1, v6 op_sel:[0,1] op_sel_hi:[1,0] neg_lo:[0,1] neg_hi:[0,1]
	s_delay_alu instid0(VALU_DEP_3) | instskip(NEXT) | instid1(VALU_DEP_2)
	v_bfi_b32 v2, 0xffff, v2, v5
	v_bfi_b32 v1, 0xffff, v7, v1
	ds_store_b32 v58, v2 offset:640
	ds_store_b32 v0, v1 offset:1280
	ds_load_b32 v1, v58 offset:704
	ds_load_b32 v2, v0 offset:1216
	s_wait_dscnt 0x0
	v_pk_add_f16 v5, v1, v2 neg_lo:[0,1] neg_hi:[0,1]
	v_pk_add_f16 v1, v1, v2
	s_delay_alu instid0(VALU_DEP_1) | instskip(SKIP_1) | instid1(VALU_DEP_2)
	v_bfi_b32 v2, 0xffff, v5, v1
	v_bfi_b32 v1, 0xffff, v1, v5
	v_pk_mul_f16 v2, v2, 0.5 op_sel_hi:[1,0]
	s_delay_alu instid0(VALU_DEP_2) | instskip(SKIP_1) | instid1(VALU_DEP_2)
	v_pk_mul_f16 v1, v1, 0.5 op_sel_hi:[1,0]
	s_wait_loadcnt 0x3
	v_pk_mul_f16 v6, v8, v2 op_sel_hi:[0,1]
	s_delay_alu instid0(VALU_DEP_2) | instskip(SKIP_2) | instid1(VALU_DEP_3)
	v_pk_fma_f16 v5, v8, v2, v1 op_sel:[1,0,0]
	v_pk_fma_f16 v7, v8, v2, v1 op_sel:[1,0,0] neg_lo:[1,0,0] neg_hi:[1,0,0]
	v_pk_fma_f16 v1, v8, v2, v1 op_sel:[1,0,0] neg_lo:[0,0,1] neg_hi:[0,0,1]
	v_pk_add_f16 v2, v5, v6 op_sel:[0,1] op_sel_hi:[1,0]
	v_pk_add_f16 v5, v5, v6 op_sel:[0,1] op_sel_hi:[1,0] neg_lo:[0,1] neg_hi:[0,1]
	s_delay_alu instid0(VALU_DEP_4) | instskip(NEXT) | instid1(VALU_DEP_4)
	v_pk_add_f16 v7, v7, v6 op_sel:[0,1] op_sel_hi:[1,0] neg_lo:[0,1] neg_hi:[0,1]
	v_pk_add_f16 v1, v1, v6 op_sel:[0,1] op_sel_hi:[1,0] neg_lo:[0,1] neg_hi:[0,1]
	s_delay_alu instid0(VALU_DEP_3) | instskip(NEXT) | instid1(VALU_DEP_2)
	v_bfi_b32 v2, 0xffff, v2, v5
	;; [unrolled: 27-line block ×5, first 2 shown]
	v_bfi_b32 v1, 0xffff, v4, v1
	ds_store_b32 v58, v2 offset:896
	ds_store_b32 v0, v1 offset:1024
	global_wb scope:SCOPE_SE
	s_wait_dscnt 0x0
	s_barrier_signal -1
	s_barrier_wait -1
	global_inv scope:SCOPE_SE
	s_and_saveexec_b32 s0, vcc_lo
	s_cbranch_execz .LBB0_24
; %bb.22:
	v_mul_lo_u32 v2, s3, v24
	v_mul_lo_u32 v3, s2, v25
	v_mad_co_u64_u32 v[0:1], null, s2, v24, 0
	v_dual_mov_b32 v19, v21 :: v_dual_add_nc_u32 v20, 16, v18
	s_delay_alu instid0(VALU_DEP_1) | instskip(NEXT) | instid1(VALU_DEP_3)
	v_lshlrev_b64_e32 v[7:8], 2, v[18:19]
	v_add3_u32 v1, v1, v3, v2
	s_delay_alu instid0(VALU_DEP_3) | instskip(SKIP_4) | instid1(VALU_DEP_4)
	v_lshlrev_b64_e32 v[9:10], 2, v[20:21]
	v_add_nc_u32_e32 v20, 32, v18
	v_lshlrev_b64_e32 v[3:4], 2, v[22:23]
	v_lshl_add_u32 v2, v18, 2, v57
	v_lshlrev_b64_e32 v[0:1], 2, v[0:1]
	v_lshlrev_b64_e32 v[11:12], 2, v[20:21]
	v_add_nc_u32_e32 v20, 48, v18
	ds_load_2addr_b32 v[5:6], v2 offset1:16
	ds_load_2addr_b32 v[22:23], v2 offset0:64 offset1:80
	v_add_co_u32 v0, vcc_lo, s6, v0
	s_wait_alu 0xfffd
	v_add_co_ci_u32_e32 v1, vcc_lo, s7, v1, vcc_lo
	v_lshlrev_b64_e32 v[13:14], 2, v[20:21]
	v_add_nc_u32_e32 v20, 64, v18
	v_add_co_u32 v0, vcc_lo, v0, v3
	s_wait_alu 0xfffd
	v_add_co_ci_u32_e32 v1, vcc_lo, v1, v4, vcc_lo
	s_delay_alu instid0(VALU_DEP_3)
	v_lshlrev_b64_e32 v[15:16], 2, v[20:21]
	v_add_nc_u32_e32 v20, 0x50, v18
	v_add_co_u32 v3, vcc_lo, v0, v7
	s_wait_alu 0xfffd
	v_add_co_ci_u32_e32 v4, vcc_lo, v1, v8, vcc_lo
	v_add_co_u32 v7, vcc_lo, v0, v9
	v_lshlrev_b64_e32 v[24:25], 2, v[20:21]
	v_add_nc_u32_e32 v20, 0x60, v18
	s_wait_alu 0xfffd
	v_add_co_ci_u32_e32 v8, vcc_lo, v1, v10, vcc_lo
	ds_load_2addr_b32 v[9:10], v2 offset0:32 offset1:48
	v_add_co_u32 v11, vcc_lo, v0, v11
	s_wait_alu 0xfffd
	v_add_co_ci_u32_e32 v12, vcc_lo, v1, v12, vcc_lo
	v_lshlrev_b64_e32 v[28:29], 2, v[20:21]
	v_add_nc_u32_e32 v20, 0x70, v18
	v_add_co_u32 v13, vcc_lo, v0, v13
	ds_load_2addr_b32 v[26:27], v2 offset0:96 offset1:112
	s_wait_alu 0xfffd
	v_add_co_ci_u32_e32 v14, vcc_lo, v1, v14, vcc_lo
	v_add_co_u32 v15, vcc_lo, v0, v15
	v_lshlrev_b64_e32 v[30:31], 2, v[20:21]
	v_add_nc_u32_e32 v20, 0x80, v18
	s_wait_alu 0xfffd
	v_add_co_ci_u32_e32 v16, vcc_lo, v1, v16, vcc_lo
	v_add_co_u32 v24, vcc_lo, v0, v24
	s_wait_alu 0xfffd
	v_add_co_ci_u32_e32 v25, vcc_lo, v1, v25, vcc_lo
	v_add_co_u32 v28, vcc_lo, v0, v28
	v_lshlrev_b64_e32 v[32:33], 2, v[20:21]
	v_add_nc_u32_e32 v20, 0x90, v18
	s_wait_alu 0xfffd
	v_add_co_ci_u32_e32 v29, vcc_lo, v1, v29, vcc_lo
	v_add_co_u32 v30, vcc_lo, v0, v30
	s_wait_alu 0xfffd
	v_add_co_ci_u32_e32 v31, vcc_lo, v1, v31, vcc_lo
	s_wait_dscnt 0x3
	s_clause 0x1
	global_store_b32 v[3:4], v5, off
	global_store_b32 v[7:8], v6, off
	s_wait_dscnt 0x1
	s_clause 0x3
	global_store_b32 v[11:12], v9, off
	global_store_b32 v[13:14], v10, off
	;; [unrolled: 1-line block ×4, first 2 shown]
	s_wait_dscnt 0x0
	s_clause 0x1
	global_store_b32 v[28:29], v26, off
	global_store_b32 v[30:31], v27, off
	v_lshlrev_b64_e32 v[5:6], 2, v[20:21]
	v_add_nc_u32_e32 v20, 0xa0, v18
	v_add_co_u32 v7, vcc_lo, v0, v32
	s_wait_alu 0xfffd
	v_add_co_ci_u32_e32 v8, vcc_lo, v1, v33, vcc_lo
	s_delay_alu instid0(VALU_DEP_3)
	v_lshlrev_b64_e32 v[9:10], 2, v[20:21]
	v_add_nc_u32_e32 v20, 0xb0, v18
	ds_load_2addr_b32 v[3:4], v2 offset0:128 offset1:144
	v_add_co_u32 v5, vcc_lo, v0, v5
	s_wait_alu 0xfffd
	v_add_co_ci_u32_e32 v6, vcc_lo, v1, v6, vcc_lo
	v_lshlrev_b64_e32 v[13:14], 2, v[20:21]
	v_add_nc_u32_e32 v20, 0xc0, v18
	ds_load_2addr_b32 v[11:12], v2 offset0:160 offset1:176
	v_add_co_u32 v9, vcc_lo, v0, v9
	ds_load_2addr_b32 v[22:23], v2 offset0:192 offset1:208
	v_lshlrev_b64_e32 v[15:16], 2, v[20:21]
	v_add_nc_u32_e32 v20, 0xd0, v18
	s_wait_alu 0xfffd
	v_add_co_ci_u32_e32 v10, vcc_lo, v1, v10, vcc_lo
	v_add_co_u32 v13, vcc_lo, v0, v13
	s_delay_alu instid0(VALU_DEP_3)
	v_lshlrev_b64_e32 v[24:25], 2, v[20:21]
	v_add_nc_u32_e32 v20, 0xe0, v18
	ds_load_2addr_b32 v[28:29], v2 offset0:224 offset1:240
	s_wait_alu 0xfffd
	v_add_co_ci_u32_e32 v14, vcc_lo, v1, v14, vcc_lo
	v_add_co_u32 v15, vcc_lo, v0, v15
	v_lshlrev_b64_e32 v[26:27], 2, v[20:21]
	v_add_nc_u32_e32 v20, 0xf0, v18
	s_wait_alu 0xfffd
	v_add_co_ci_u32_e32 v16, vcc_lo, v1, v16, vcc_lo
	v_add_co_u32 v24, vcc_lo, v0, v24
	s_delay_alu instid0(VALU_DEP_3) | instskip(SKIP_4) | instid1(VALU_DEP_3)
	v_lshlrev_b64_e32 v[30:31], 2, v[20:21]
	v_add_nc_u32_e32 v20, 0x100, v18
	s_wait_alu 0xfffd
	v_add_co_ci_u32_e32 v25, vcc_lo, v1, v25, vcc_lo
	v_add_co_u32 v26, vcc_lo, v0, v26
	v_lshlrev_b64_e32 v[32:33], 2, v[20:21]
	v_add_nc_u32_e32 v20, 0x110, v18
	s_wait_alu 0xfffd
	v_add_co_ci_u32_e32 v27, vcc_lo, v1, v27, vcc_lo
	v_add_co_u32 v30, vcc_lo, v0, v30
	s_wait_alu 0xfffd
	v_add_co_ci_u32_e32 v31, vcc_lo, v1, v31, vcc_lo
	s_wait_dscnt 0x3
	s_clause 0x1
	global_store_b32 v[7:8], v3, off
	global_store_b32 v[5:6], v4, off
	s_wait_dscnt 0x2
	s_clause 0x1
	global_store_b32 v[9:10], v11, off
	global_store_b32 v[13:14], v12, off
	;; [unrolled: 4-line block ×4, first 2 shown]
	v_lshlrev_b64_e32 v[5:6], 2, v[20:21]
	v_add_nc_u32_e32 v20, 0x120, v18
	v_add_nc_u32_e32 v17, 0x400, v2
	v_add_co_u32 v7, vcc_lo, v0, v32
	s_wait_alu 0xfffd
	v_add_co_ci_u32_e32 v8, vcc_lo, v1, v33, vcc_lo
	v_lshlrev_b64_e32 v[9:10], 2, v[20:21]
	v_add_nc_u32_e32 v20, 0x130, v18
	ds_load_2addr_b32 v[3:4], v17 offset1:16
	v_add_co_u32 v5, vcc_lo, v0, v5
	s_wait_alu 0xfffd
	v_add_co_ci_u32_e32 v6, vcc_lo, v1, v6, vcc_lo
	v_lshlrev_b64_e32 v[13:14], 2, v[20:21]
	v_add_nc_u32_e32 v20, 0x140, v18
	ds_load_2addr_b32 v[11:12], v17 offset0:32 offset1:48
	v_add_co_u32 v9, vcc_lo, v0, v9
	ds_load_2addr_b32 v[22:23], v17 offset0:64 offset1:80
	v_lshlrev_b64_e32 v[15:16], 2, v[20:21]
	v_add_nc_u32_e32 v20, 0x150, v18
	s_wait_alu 0xfffd
	v_add_co_ci_u32_e32 v10, vcc_lo, v1, v10, vcc_lo
	v_add_co_u32 v13, vcc_lo, v0, v13
	s_delay_alu instid0(VALU_DEP_3)
	v_lshlrev_b64_e32 v[24:25], 2, v[20:21]
	v_add_nc_u32_e32 v20, 0x160, v18
	ds_load_2addr_b32 v[26:27], v17 offset0:96 offset1:112
	s_wait_alu 0xfffd
	v_add_co_ci_u32_e32 v14, vcc_lo, v1, v14, vcc_lo
	v_add_co_u32 v15, vcc_lo, v0, v15
	v_lshlrev_b64_e32 v[28:29], 2, v[20:21]
	v_add_nc_u32_e32 v20, 0x170, v18
	s_wait_alu 0xfffd
	v_add_co_ci_u32_e32 v16, vcc_lo, v1, v16, vcc_lo
	v_add_co_u32 v24, vcc_lo, v0, v24
	s_delay_alu instid0(VALU_DEP_3) | instskip(SKIP_4) | instid1(VALU_DEP_3)
	v_lshlrev_b64_e32 v[30:31], 2, v[20:21]
	v_add_nc_u32_e32 v20, 0x180, v18
	s_wait_alu 0xfffd
	v_add_co_ci_u32_e32 v25, vcc_lo, v1, v25, vcc_lo
	v_add_co_u32 v28, vcc_lo, v0, v28
	v_lshlrev_b64_e32 v[32:33], 2, v[20:21]
	v_add_nc_u32_e32 v20, 0x190, v18
	s_wait_alu 0xfffd
	v_add_co_ci_u32_e32 v29, vcc_lo, v1, v29, vcc_lo
	v_add_co_u32 v30, vcc_lo, v0, v30
	s_wait_alu 0xfffd
	v_add_co_ci_u32_e32 v31, vcc_lo, v1, v31, vcc_lo
	s_wait_dscnt 0x3
	s_clause 0x1
	global_store_b32 v[7:8], v3, off
	global_store_b32 v[5:6], v4, off
	s_wait_dscnt 0x2
	s_clause 0x1
	global_store_b32 v[9:10], v11, off
	global_store_b32 v[13:14], v12, off
	;; [unrolled: 4-line block ×4, first 2 shown]
	v_lshlrev_b64_e32 v[5:6], 2, v[20:21]
	v_add_nc_u32_e32 v20, 0x1a0, v18
	v_add_co_u32 v7, vcc_lo, v0, v32
	s_wait_alu 0xfffd
	v_add_co_ci_u32_e32 v8, vcc_lo, v1, v33, vcc_lo
	s_delay_alu instid0(VALU_DEP_3)
	v_lshlrev_b64_e32 v[9:10], 2, v[20:21]
	v_add_nc_u32_e32 v20, 0x1b0, v18
	ds_load_2addr_b32 v[3:4], v17 offset0:128 offset1:144
	v_add_co_u32 v5, vcc_lo, v0, v5
	s_wait_alu 0xfffd
	v_add_co_ci_u32_e32 v6, vcc_lo, v1, v6, vcc_lo
	v_lshlrev_b64_e32 v[13:14], 2, v[20:21]
	v_add_nc_u32_e32 v20, 0x1c0, v18
	ds_load_2addr_b32 v[11:12], v17 offset0:160 offset1:176
	v_add_co_u32 v9, vcc_lo, v0, v9
	ds_load_2addr_b32 v[15:16], v17 offset0:192 offset1:208
	v_lshlrev_b64_e32 v[22:23], 2, v[20:21]
	v_add_nc_u32_e32 v20, 0x1d0, v18
	s_wait_alu 0xfffd
	v_add_co_ci_u32_e32 v10, vcc_lo, v1, v10, vcc_lo
	v_add_co_u32 v13, vcc_lo, v0, v13
	s_delay_alu instid0(VALU_DEP_3)
	v_lshlrev_b64_e32 v[19:20], 2, v[20:21]
	s_wait_alu 0xfffd
	v_add_co_ci_u32_e32 v14, vcc_lo, v1, v14, vcc_lo
	v_add_co_u32 v21, vcc_lo, v0, v22
	s_wait_alu 0xfffd
	v_add_co_ci_u32_e32 v22, vcc_lo, v1, v23, vcc_lo
	v_add_co_u32 v19, vcc_lo, v0, v19
	s_wait_alu 0xfffd
	v_add_co_ci_u32_e32 v20, vcc_lo, v1, v20, vcc_lo
	v_cmp_eq_u32_e32 vcc_lo, 15, v18
	s_wait_dscnt 0x2
	s_clause 0x1
	global_store_b32 v[7:8], v3, off
	global_store_b32 v[5:6], v4, off
	s_wait_dscnt 0x1
	s_clause 0x1
	global_store_b32 v[9:10], v11, off
	global_store_b32 v[13:14], v12, off
	;; [unrolled: 4-line block ×3, first 2 shown]
	s_and_b32 exec_lo, exec_lo, vcc_lo
	s_cbranch_execz .LBB0_24
; %bb.23:
	ds_load_b32 v2, v2 offset:1860
	s_wait_dscnt 0x0
	global_store_b32 v[0:1], v2, off offset:1920
.LBB0_24:
	s_nop 0
	s_sendmsg sendmsg(MSG_DEALLOC_VGPRS)
	s_endpgm
	.section	.rodata,"a",@progbits
	.p2align	6, 0x0
	.amdhsa_kernel fft_rtc_back_len480_factors_10_8_6_wgs_64_tpt_16_halfLds_half_op_CI_CI_unitstride_sbrr_R2C_dirReg
		.amdhsa_group_segment_fixed_size 0
		.amdhsa_private_segment_fixed_size 0
		.amdhsa_kernarg_size 104
		.amdhsa_user_sgpr_count 2
		.amdhsa_user_sgpr_dispatch_ptr 0
		.amdhsa_user_sgpr_queue_ptr 0
		.amdhsa_user_sgpr_kernarg_segment_ptr 1
		.amdhsa_user_sgpr_dispatch_id 0
		.amdhsa_user_sgpr_private_segment_size 0
		.amdhsa_wavefront_size32 1
		.amdhsa_uses_dynamic_stack 0
		.amdhsa_enable_private_segment 0
		.amdhsa_system_sgpr_workgroup_id_x 1
		.amdhsa_system_sgpr_workgroup_id_y 0
		.amdhsa_system_sgpr_workgroup_id_z 0
		.amdhsa_system_sgpr_workgroup_info 0
		.amdhsa_system_vgpr_workitem_id 0
		.amdhsa_next_free_vgpr 126
		.amdhsa_next_free_sgpr 39
		.amdhsa_reserve_vcc 1
		.amdhsa_float_round_mode_32 0
		.amdhsa_float_round_mode_16_64 0
		.amdhsa_float_denorm_mode_32 3
		.amdhsa_float_denorm_mode_16_64 3
		.amdhsa_fp16_overflow 0
		.amdhsa_workgroup_processor_mode 1
		.amdhsa_memory_ordered 1
		.amdhsa_forward_progress 0
		.amdhsa_round_robin_scheduling 0
		.amdhsa_exception_fp_ieee_invalid_op 0
		.amdhsa_exception_fp_denorm_src 0
		.amdhsa_exception_fp_ieee_div_zero 0
		.amdhsa_exception_fp_ieee_overflow 0
		.amdhsa_exception_fp_ieee_underflow 0
		.amdhsa_exception_fp_ieee_inexact 0
		.amdhsa_exception_int_div_zero 0
	.end_amdhsa_kernel
	.text
.Lfunc_end0:
	.size	fft_rtc_back_len480_factors_10_8_6_wgs_64_tpt_16_halfLds_half_op_CI_CI_unitstride_sbrr_R2C_dirReg, .Lfunc_end0-fft_rtc_back_len480_factors_10_8_6_wgs_64_tpt_16_halfLds_half_op_CI_CI_unitstride_sbrr_R2C_dirReg
                                        ; -- End function
	.section	.AMDGPU.csdata,"",@progbits
; Kernel info:
; codeLenInByte = 16820
; NumSgprs: 41
; NumVgprs: 126
; ScratchSize: 0
; MemoryBound: 0
; FloatMode: 240
; IeeeMode: 1
; LDSByteSize: 0 bytes/workgroup (compile time only)
; SGPRBlocks: 5
; VGPRBlocks: 15
; NumSGPRsForWavesPerEU: 41
; NumVGPRsForWavesPerEU: 126
; Occupancy: 10
; WaveLimiterHint : 1
; COMPUTE_PGM_RSRC2:SCRATCH_EN: 0
; COMPUTE_PGM_RSRC2:USER_SGPR: 2
; COMPUTE_PGM_RSRC2:TRAP_HANDLER: 0
; COMPUTE_PGM_RSRC2:TGID_X_EN: 1
; COMPUTE_PGM_RSRC2:TGID_Y_EN: 0
; COMPUTE_PGM_RSRC2:TGID_Z_EN: 0
; COMPUTE_PGM_RSRC2:TIDIG_COMP_CNT: 0
	.text
	.p2alignl 7, 3214868480
	.fill 96, 4, 3214868480
	.type	__hip_cuid_326ccf1dcbdaf0d0,@object ; @__hip_cuid_326ccf1dcbdaf0d0
	.section	.bss,"aw",@nobits
	.globl	__hip_cuid_326ccf1dcbdaf0d0
__hip_cuid_326ccf1dcbdaf0d0:
	.byte	0                               ; 0x0
	.size	__hip_cuid_326ccf1dcbdaf0d0, 1

	.ident	"AMD clang version 19.0.0git (https://github.com/RadeonOpenCompute/llvm-project roc-6.4.0 25133 c7fe45cf4b819c5991fe208aaa96edf142730f1d)"
	.section	".note.GNU-stack","",@progbits
	.addrsig
	.addrsig_sym __hip_cuid_326ccf1dcbdaf0d0
	.amdgpu_metadata
---
amdhsa.kernels:
  - .args:
      - .actual_access:  read_only
        .address_space:  global
        .offset:         0
        .size:           8
        .value_kind:     global_buffer
      - .offset:         8
        .size:           8
        .value_kind:     by_value
      - .actual_access:  read_only
        .address_space:  global
        .offset:         16
        .size:           8
        .value_kind:     global_buffer
      - .actual_access:  read_only
        .address_space:  global
        .offset:         24
        .size:           8
        .value_kind:     global_buffer
      - .actual_access:  read_only
        .address_space:  global
        .offset:         32
        .size:           8
        .value_kind:     global_buffer
      - .offset:         40
        .size:           8
        .value_kind:     by_value
      - .actual_access:  read_only
        .address_space:  global
        .offset:         48
        .size:           8
        .value_kind:     global_buffer
      - .actual_access:  read_only
        .address_space:  global
        .offset:         56
        .size:           8
        .value_kind:     global_buffer
      - .offset:         64
        .size:           4
        .value_kind:     by_value
      - .actual_access:  read_only
        .address_space:  global
        .offset:         72
        .size:           8
        .value_kind:     global_buffer
      - .actual_access:  read_only
        .address_space:  global
        .offset:         80
        .size:           8
        .value_kind:     global_buffer
      - .actual_access:  read_only
        .address_space:  global
        .offset:         88
        .size:           8
        .value_kind:     global_buffer
      - .actual_access:  write_only
        .address_space:  global
        .offset:         96
        .size:           8
        .value_kind:     global_buffer
    .group_segment_fixed_size: 0
    .kernarg_segment_align: 8
    .kernarg_segment_size: 104
    .language:       OpenCL C
    .language_version:
      - 2
      - 0
    .max_flat_workgroup_size: 64
    .name:           fft_rtc_back_len480_factors_10_8_6_wgs_64_tpt_16_halfLds_half_op_CI_CI_unitstride_sbrr_R2C_dirReg
    .private_segment_fixed_size: 0
    .sgpr_count:     41
    .sgpr_spill_count: 0
    .symbol:         fft_rtc_back_len480_factors_10_8_6_wgs_64_tpt_16_halfLds_half_op_CI_CI_unitstride_sbrr_R2C_dirReg.kd
    .uniform_work_group_size: 1
    .uses_dynamic_stack: false
    .vgpr_count:     126
    .vgpr_spill_count: 0
    .wavefront_size: 32
    .workgroup_processor_mode: 1
amdhsa.target:   amdgcn-amd-amdhsa--gfx1201
amdhsa.version:
  - 1
  - 2
...

	.end_amdgpu_metadata
